;; amdgpu-corpus repo=ROCm/rocFFT kind=compiled arch=gfx1201 opt=O3
	.text
	.amdgcn_target "amdgcn-amd-amdhsa--gfx1201"
	.amdhsa_code_object_version 6
	.protected	fft_rtc_fwd_len1078_factors_2_11_7_7_wgs_231_tpt_77_halfLds_sp_ip_CI_unitstride_sbrr_C2R_dirReg ; -- Begin function fft_rtc_fwd_len1078_factors_2_11_7_7_wgs_231_tpt_77_halfLds_sp_ip_CI_unitstride_sbrr_C2R_dirReg
	.globl	fft_rtc_fwd_len1078_factors_2_11_7_7_wgs_231_tpt_77_halfLds_sp_ip_CI_unitstride_sbrr_C2R_dirReg
	.p2align	8
	.type	fft_rtc_fwd_len1078_factors_2_11_7_7_wgs_231_tpt_77_halfLds_sp_ip_CI_unitstride_sbrr_C2R_dirReg,@function
fft_rtc_fwd_len1078_factors_2_11_7_7_wgs_231_tpt_77_halfLds_sp_ip_CI_unitstride_sbrr_C2R_dirReg: ; @fft_rtc_fwd_len1078_factors_2_11_7_7_wgs_231_tpt_77_halfLds_sp_ip_CI_unitstride_sbrr_C2R_dirReg
; %bb.0:
	s_load_b128 s[4:7], s[0:1], 0x0
	v_mul_u32_u24_e32 v1, 0x354, v0
	s_clause 0x1
	s_load_b64 s[8:9], s[0:1], 0x50
	s_load_b64 s[10:11], s[0:1], 0x18
	v_mov_b32_e32 v5, 0
	v_lshrrev_b32_e32 v1, 16, v1
	s_delay_alu instid0(VALU_DEP_1) | instskip(SKIP_3) | instid1(VALU_DEP_1)
	v_mad_co_u64_u32 v[1:2], null, ttmp9, 3, v[1:2]
	v_mov_b32_e32 v3, 0
	v_mov_b32_e32 v4, 0
	;; [unrolled: 1-line block ×4, first 2 shown]
	s_wait_kmcnt 0x0
	v_cmp_lt_u64_e64 s2, s[6:7], 2
	v_mov_b32_e32 v9, v1
	s_delay_alu instid0(VALU_DEP_2)
	s_and_b32 vcc_lo, exec_lo, s2
	s_cbranch_vccnz .LBB0_8
; %bb.1:
	s_load_b64 s[2:3], s[0:1], 0x10
	v_dual_mov_b32 v3, 0 :: v_dual_mov_b32 v8, v2
	v_dual_mov_b32 v4, 0 :: v_dual_mov_b32 v7, v1
	s_add_nc_u64 s[12:13], s[10:11], 8
	s_mov_b64 s[14:15], 1
	s_wait_kmcnt 0x0
	s_add_nc_u64 s[16:17], s[2:3], 8
	s_mov_b32 s3, 0
.LBB0_2:                                ; =>This Inner Loop Header: Depth=1
	s_load_b64 s[18:19], s[16:17], 0x0
                                        ; implicit-def: $vgpr9_vgpr10
	s_mov_b32 s2, exec_lo
	s_wait_kmcnt 0x0
	v_or_b32_e32 v6, s19, v8
	s_delay_alu instid0(VALU_DEP_1)
	v_cmpx_ne_u64_e32 0, v[5:6]
	s_wait_alu 0xfffe
	s_xor_b32 s20, exec_lo, s2
	s_cbranch_execz .LBB0_4
; %bb.3:                                ;   in Loop: Header=BB0_2 Depth=1
	s_cvt_f32_u32 s2, s18
	s_cvt_f32_u32 s21, s19
	s_sub_nc_u64 s[24:25], 0, s[18:19]
	s_wait_alu 0xfffe
	s_delay_alu instid0(SALU_CYCLE_1) | instskip(SKIP_1) | instid1(SALU_CYCLE_2)
	s_fmamk_f32 s2, s21, 0x4f800000, s2
	s_wait_alu 0xfffe
	v_s_rcp_f32 s2, s2
	s_delay_alu instid0(TRANS32_DEP_1) | instskip(SKIP_1) | instid1(SALU_CYCLE_2)
	s_mul_f32 s2, s2, 0x5f7ffffc
	s_wait_alu 0xfffe
	s_mul_f32 s21, s2, 0x2f800000
	s_wait_alu 0xfffe
	s_delay_alu instid0(SALU_CYCLE_2) | instskip(SKIP_1) | instid1(SALU_CYCLE_2)
	s_trunc_f32 s21, s21
	s_wait_alu 0xfffe
	s_fmamk_f32 s2, s21, 0xcf800000, s2
	s_cvt_u32_f32 s23, s21
	s_wait_alu 0xfffe
	s_delay_alu instid0(SALU_CYCLE_1) | instskip(SKIP_1) | instid1(SALU_CYCLE_2)
	s_cvt_u32_f32 s22, s2
	s_wait_alu 0xfffe
	s_mul_u64 s[26:27], s[24:25], s[22:23]
	s_wait_alu 0xfffe
	s_mul_hi_u32 s29, s22, s27
	s_mul_i32 s28, s22, s27
	s_mul_hi_u32 s2, s22, s26
	s_mul_i32 s30, s23, s26
	s_wait_alu 0xfffe
	s_add_nc_u64 s[28:29], s[2:3], s[28:29]
	s_mul_hi_u32 s21, s23, s26
	s_mul_hi_u32 s31, s23, s27
	s_add_co_u32 s2, s28, s30
	s_wait_alu 0xfffe
	s_add_co_ci_u32 s2, s29, s21
	s_mul_i32 s26, s23, s27
	s_add_co_ci_u32 s27, s31, 0
	s_wait_alu 0xfffe
	s_add_nc_u64 s[26:27], s[2:3], s[26:27]
	s_wait_alu 0xfffe
	v_add_co_u32 v2, s2, s22, s26
	s_delay_alu instid0(VALU_DEP_1) | instskip(SKIP_1) | instid1(VALU_DEP_1)
	s_cmp_lg_u32 s2, 0
	s_add_co_ci_u32 s23, s23, s27
	v_readfirstlane_b32 s22, v2
	s_wait_alu 0xfffe
	s_delay_alu instid0(VALU_DEP_1)
	s_mul_u64 s[24:25], s[24:25], s[22:23]
	s_wait_alu 0xfffe
	s_mul_hi_u32 s27, s22, s25
	s_mul_i32 s26, s22, s25
	s_mul_hi_u32 s2, s22, s24
	s_mul_i32 s28, s23, s24
	s_wait_alu 0xfffe
	s_add_nc_u64 s[26:27], s[2:3], s[26:27]
	s_mul_hi_u32 s21, s23, s24
	s_mul_hi_u32 s22, s23, s25
	s_wait_alu 0xfffe
	s_add_co_u32 s2, s26, s28
	s_add_co_ci_u32 s2, s27, s21
	s_mul_i32 s24, s23, s25
	s_add_co_ci_u32 s25, s22, 0
	s_wait_alu 0xfffe
	s_add_nc_u64 s[24:25], s[2:3], s[24:25]
	s_wait_alu 0xfffe
	v_add_co_u32 v2, s2, v2, s24
	s_delay_alu instid0(VALU_DEP_1) | instskip(SKIP_1) | instid1(VALU_DEP_1)
	s_cmp_lg_u32 s2, 0
	s_add_co_ci_u32 s2, s23, s25
	v_mul_hi_u32 v6, v7, v2
	s_wait_alu 0xfffe
	v_mad_co_u64_u32 v[9:10], null, v7, s2, 0
	v_mad_co_u64_u32 v[11:12], null, v8, v2, 0
	;; [unrolled: 1-line block ×3, first 2 shown]
	s_delay_alu instid0(VALU_DEP_3) | instskip(SKIP_1) | instid1(VALU_DEP_4)
	v_add_co_u32 v2, vcc_lo, v6, v9
	s_wait_alu 0xfffd
	v_add_co_ci_u32_e32 v6, vcc_lo, 0, v10, vcc_lo
	s_delay_alu instid0(VALU_DEP_2) | instskip(SKIP_1) | instid1(VALU_DEP_2)
	v_add_co_u32 v2, vcc_lo, v2, v11
	s_wait_alu 0xfffd
	v_add_co_ci_u32_e32 v2, vcc_lo, v6, v12, vcc_lo
	s_wait_alu 0xfffd
	v_add_co_ci_u32_e32 v6, vcc_lo, 0, v14, vcc_lo
	s_delay_alu instid0(VALU_DEP_2) | instskip(SKIP_1) | instid1(VALU_DEP_2)
	v_add_co_u32 v2, vcc_lo, v2, v13
	s_wait_alu 0xfffd
	v_add_co_ci_u32_e32 v6, vcc_lo, 0, v6, vcc_lo
	s_delay_alu instid0(VALU_DEP_2) | instskip(SKIP_1) | instid1(VALU_DEP_3)
	v_mul_lo_u32 v11, s19, v2
	v_mad_co_u64_u32 v[9:10], null, s18, v2, 0
	v_mul_lo_u32 v12, s18, v6
	s_delay_alu instid0(VALU_DEP_2) | instskip(NEXT) | instid1(VALU_DEP_2)
	v_sub_co_u32 v9, vcc_lo, v7, v9
	v_add3_u32 v10, v10, v12, v11
	s_delay_alu instid0(VALU_DEP_1) | instskip(SKIP_1) | instid1(VALU_DEP_1)
	v_sub_nc_u32_e32 v11, v8, v10
	s_wait_alu 0xfffd
	v_subrev_co_ci_u32_e64 v11, s2, s19, v11, vcc_lo
	v_add_co_u32 v12, s2, v2, 2
	s_wait_alu 0xf1ff
	v_add_co_ci_u32_e64 v13, s2, 0, v6, s2
	v_sub_co_u32 v14, s2, v9, s18
	v_sub_co_ci_u32_e32 v10, vcc_lo, v8, v10, vcc_lo
	s_wait_alu 0xf1ff
	v_subrev_co_ci_u32_e64 v11, s2, 0, v11, s2
	s_delay_alu instid0(VALU_DEP_3) | instskip(NEXT) | instid1(VALU_DEP_3)
	v_cmp_le_u32_e32 vcc_lo, s18, v14
	v_cmp_eq_u32_e64 s2, s19, v10
	s_wait_alu 0xfffd
	v_cndmask_b32_e64 v14, 0, -1, vcc_lo
	v_cmp_le_u32_e32 vcc_lo, s19, v11
	s_wait_alu 0xfffd
	v_cndmask_b32_e64 v15, 0, -1, vcc_lo
	v_cmp_le_u32_e32 vcc_lo, s18, v9
	;; [unrolled: 3-line block ×3, first 2 shown]
	s_wait_alu 0xfffd
	v_cndmask_b32_e64 v16, 0, -1, vcc_lo
	v_cmp_eq_u32_e32 vcc_lo, s19, v11
	s_wait_alu 0xf1ff
	s_delay_alu instid0(VALU_DEP_2)
	v_cndmask_b32_e64 v9, v16, v9, s2
	s_wait_alu 0xfffd
	v_cndmask_b32_e32 v11, v15, v14, vcc_lo
	v_add_co_u32 v14, vcc_lo, v2, 1
	s_wait_alu 0xfffd
	v_add_co_ci_u32_e32 v15, vcc_lo, 0, v6, vcc_lo
	s_delay_alu instid0(VALU_DEP_3) | instskip(SKIP_1) | instid1(VALU_DEP_2)
	v_cmp_ne_u32_e32 vcc_lo, 0, v11
	s_wait_alu 0xfffd
	v_dual_cndmask_b32 v10, v15, v13 :: v_dual_cndmask_b32 v11, v14, v12
	v_cmp_ne_u32_e32 vcc_lo, 0, v9
	s_wait_alu 0xfffd
	s_delay_alu instid0(VALU_DEP_2) | instskip(NEXT) | instid1(VALU_DEP_3)
	v_cndmask_b32_e32 v10, v6, v10, vcc_lo
	v_cndmask_b32_e32 v9, v2, v11, vcc_lo
.LBB0_4:                                ;   in Loop: Header=BB0_2 Depth=1
	s_wait_alu 0xfffe
	s_and_not1_saveexec_b32 s2, s20
	s_cbranch_execz .LBB0_6
; %bb.5:                                ;   in Loop: Header=BB0_2 Depth=1
	v_cvt_f32_u32_e32 v2, s18
	s_sub_co_i32 s20, 0, s18
	s_delay_alu instid0(VALU_DEP_1) | instskip(NEXT) | instid1(TRANS32_DEP_1)
	v_rcp_iflag_f32_e32 v2, v2
	v_mul_f32_e32 v2, 0x4f7ffffe, v2
	s_delay_alu instid0(VALU_DEP_1) | instskip(SKIP_1) | instid1(VALU_DEP_1)
	v_cvt_u32_f32_e32 v2, v2
	s_wait_alu 0xfffe
	v_mul_lo_u32 v6, s20, v2
	s_delay_alu instid0(VALU_DEP_1) | instskip(NEXT) | instid1(VALU_DEP_1)
	v_mul_hi_u32 v6, v2, v6
	v_add_nc_u32_e32 v2, v2, v6
	s_delay_alu instid0(VALU_DEP_1) | instskip(NEXT) | instid1(VALU_DEP_1)
	v_mul_hi_u32 v2, v7, v2
	v_mul_lo_u32 v6, v2, s18
	v_add_nc_u32_e32 v9, 1, v2
	s_delay_alu instid0(VALU_DEP_2) | instskip(NEXT) | instid1(VALU_DEP_1)
	v_sub_nc_u32_e32 v6, v7, v6
	v_subrev_nc_u32_e32 v10, s18, v6
	v_cmp_le_u32_e32 vcc_lo, s18, v6
	s_wait_alu 0xfffd
	s_delay_alu instid0(VALU_DEP_2) | instskip(SKIP_2) | instid1(VALU_DEP_3)
	v_cndmask_b32_e32 v6, v6, v10, vcc_lo
	v_mov_b32_e32 v10, v5
	v_cndmask_b32_e32 v2, v2, v9, vcc_lo
	v_cmp_le_u32_e32 vcc_lo, s18, v6
	s_delay_alu instid0(VALU_DEP_2) | instskip(SKIP_1) | instid1(VALU_DEP_1)
	v_add_nc_u32_e32 v9, 1, v2
	s_wait_alu 0xfffd
	v_cndmask_b32_e32 v9, v2, v9, vcc_lo
.LBB0_6:                                ;   in Loop: Header=BB0_2 Depth=1
	s_wait_alu 0xfffe
	s_or_b32 exec_lo, exec_lo, s2
	s_load_b64 s[20:21], s[12:13], 0x0
	v_mul_lo_u32 v2, v10, s18
	v_mul_lo_u32 v6, v9, s19
	v_mad_co_u64_u32 v[11:12], null, v9, s18, 0
	s_add_nc_u64 s[14:15], s[14:15], 1
	s_add_nc_u64 s[12:13], s[12:13], 8
	s_wait_alu 0xfffe
	v_cmp_ge_u64_e64 s2, s[14:15], s[6:7]
	s_add_nc_u64 s[16:17], s[16:17], 8
	s_delay_alu instid0(VALU_DEP_2) | instskip(NEXT) | instid1(VALU_DEP_3)
	v_add3_u32 v2, v12, v6, v2
	v_sub_co_u32 v6, vcc_lo, v7, v11
	s_wait_alu 0xfffd
	s_delay_alu instid0(VALU_DEP_2) | instskip(SKIP_3) | instid1(VALU_DEP_2)
	v_sub_co_ci_u32_e32 v2, vcc_lo, v8, v2, vcc_lo
	s_and_b32 vcc_lo, exec_lo, s2
	s_wait_kmcnt 0x0
	v_mul_lo_u32 v7, s21, v6
	v_mul_lo_u32 v2, s20, v2
	v_mad_co_u64_u32 v[3:4], null, s20, v6, v[3:4]
	s_delay_alu instid0(VALU_DEP_1)
	v_add3_u32 v4, v7, v4, v2
	s_wait_alu 0xfffe
	s_cbranch_vccnz .LBB0_8
; %bb.7:                                ;   in Loop: Header=BB0_2 Depth=1
	v_dual_mov_b32 v7, v9 :: v_dual_mov_b32 v8, v10
	s_branch .LBB0_2
.LBB0_8:
	s_lshl_b64 s[2:3], s[6:7], 3
	v_mul_hi_u32 v2, 0xaaaaaaab, v1
	s_wait_alu 0xfffe
	s_add_nc_u64 s[2:3], s[10:11], s[2:3]
	s_load_b64 s[0:1], s[0:1], 0x20
	s_load_b64 s[2:3], s[2:3], 0x0
	v_mul_hi_u32 v5, 0x3531ded, v0
	s_delay_alu instid0(VALU_DEP_2) | instskip(NEXT) | instid1(VALU_DEP_2)
	v_lshrrev_b32_e32 v2, 1, v2
	v_mul_u32_u24_e32 v5, 0x4d, v5
	s_delay_alu instid0(VALU_DEP_2) | instskip(NEXT) | instid1(VALU_DEP_2)
	v_lshl_add_u32 v2, v2, 1, v2
	v_sub_nc_u32_e32 v56, v0, v5
	s_delay_alu instid0(VALU_DEP_2)
	v_sub_nc_u32_e32 v1, v1, v2
	s_wait_kmcnt 0x0
	v_cmp_gt_u64_e32 vcc_lo, s[0:1], v[9:10]
	v_mul_lo_u32 v6, s2, v10
	v_mul_lo_u32 v7, s3, v9
	v_mad_co_u64_u32 v[3:4], null, s2, v9, v[3:4]
	v_mul_u32_u24_e32 v2, 0x437, v1
	s_delay_alu instid0(VALU_DEP_1) | instskip(NEXT) | instid1(VALU_DEP_3)
	v_lshlrev_b32_e32 v70, 3, v2
	v_add3_u32 v4, v7, v4, v6
	s_delay_alu instid0(VALU_DEP_1)
	v_lshlrev_b64_e32 v[58:59], 3, v[3:4]
	s_and_saveexec_b32 s1, vcc_lo
	s_cbranch_execz .LBB0_12
; %bb.9:
	v_mov_b32_e32 v57, 0
	s_delay_alu instid0(VALU_DEP_2) | instskip(SKIP_2) | instid1(VALU_DEP_3)
	v_add_co_u32 v0, s0, s8, v58
	s_wait_alu 0xf1ff
	v_add_co_ci_u32_e64 v1, s0, s9, v59, s0
	v_lshlrev_b64_e32 v[3:4], 3, v[56:57]
	s_mov_b32 s2, exec_lo
	s_delay_alu instid0(VALU_DEP_1) | instskip(SKIP_1) | instid1(VALU_DEP_2)
	v_add_co_u32 v3, s0, v0, v3
	s_wait_alu 0xf1ff
	v_add_co_ci_u32_e64 v4, s0, v1, v4, s0
	s_clause 0xd
	global_load_b64 v[5:6], v[3:4], off
	global_load_b64 v[7:8], v[3:4], off offset:616
	global_load_b64 v[9:10], v[3:4], off offset:1232
	;; [unrolled: 1-line block ×13, first 2 shown]
	v_lshlrev_b32_e32 v3, 3, v56
	s_delay_alu instid0(VALU_DEP_1) | instskip(NEXT) | instid1(VALU_DEP_1)
	v_add3_u32 v3, 0, v70, v3
	v_add_nc_u32_e32 v4, 0x800, v3
	v_add_nc_u32_e32 v33, 0xc00, v3
	;; [unrolled: 1-line block ×4, first 2 shown]
	s_wait_loadcnt 0xc
	ds_store_2addr_b64 v3, v[5:6], v[7:8] offset1:77
	s_wait_loadcnt 0xa
	ds_store_2addr_b64 v3, v[9:10], v[11:12] offset0:154 offset1:231
	s_wait_loadcnt 0x8
	ds_store_2addr_b64 v4, v[13:14], v[15:16] offset0:52 offset1:129
	;; [unrolled: 2-line block ×6, first 2 shown]
	v_cmpx_eq_u32_e32 0x4c, v56
	s_cbranch_execz .LBB0_11
; %bb.10:
	global_load_b64 v[0:1], v[0:1], off offset:8624
	v_mov_b32_e32 v56, 0x4c
	s_wait_loadcnt 0x0
	ds_store_b64 v3, v[0:1] offset:8016
.LBB0_11:
	s_wait_alu 0xfffe
	s_or_b32 exec_lo, exec_lo, s2
.LBB0_12:
	s_wait_alu 0xfffe
	s_or_b32 exec_lo, exec_lo, s1
	v_lshl_add_u32 v68, v2, 3, 0
	v_lshlrev_b32_e32 v0, 3, v56
	global_wb scope:SCOPE_SE
	s_wait_dscnt 0x0
	s_barrier_signal -1
	s_barrier_wait -1
	global_inv scope:SCOPE_SE
	v_add_nc_u32_e32 v69, v68, v0
	v_sub_nc_u32_e32 v4, v68, v0
	s_mov_b32 s1, exec_lo
	ds_load_b32 v1, v69
	ds_load_b32 v2, v4 offset:8624
	s_wait_dscnt 0x0
	v_dual_add_f32 v0, v2, v1 :: v_dual_sub_f32 v1, v1, v2
                                        ; implicit-def: $vgpr2_vgpr3
	v_cmpx_ne_u32_e32 0, v56
	s_wait_alu 0xfffe
	s_xor_b32 s1, exec_lo, s1
	s_cbranch_execz .LBB0_14
; %bb.13:
	v_mov_b32_e32 v57, 0
	s_delay_alu instid0(VALU_DEP_1) | instskip(NEXT) | instid1(VALU_DEP_1)
	v_lshlrev_b64_e32 v[2:3], 3, v[56:57]
	v_add_co_u32 v2, s0, s4, v2
	s_wait_alu 0xf1ff
	s_delay_alu instid0(VALU_DEP_2)
	v_add_co_ci_u32_e64 v3, s0, s5, v3, s0
	global_load_b64 v[2:3], v[2:3], off offset:8608
	ds_load_b32 v5, v4 offset:8628
	ds_load_b32 v6, v69 offset:4
	s_wait_dscnt 0x0
	v_add_f32_e32 v9, v5, v6
	v_sub_f32_e32 v5, v6, v5
	s_wait_loadcnt 0x0
	s_delay_alu instid0(VALU_DEP_1) | instskip(SKIP_2) | instid1(VALU_DEP_3)
	v_fma_f32 v8, v9, v3, -v5
	v_fma_f32 v10, v1, v3, v0
	v_fma_f32 v7, -v1, v3, v0
                                        ; implicit-def: $vgpr0
	v_fmac_f32_e32 v8, v1, v2
	v_fma_f32 v6, v9, v3, v5
	s_delay_alu instid0(VALU_DEP_4) | instskip(NEXT) | instid1(VALU_DEP_2)
	v_fma_f32 v5, -v2, v9, v10
	v_dual_fmac_f32 v7, v2, v9 :: v_dual_fmac_f32 v6, v1, v2
	v_dual_mov_b32 v2, v56 :: v_dual_mov_b32 v3, v57
	ds_store_b64 v69, v[5:6]
	ds_store_b64 v4, v[7:8] offset:8624
.LBB0_14:
	s_wait_alu 0xfffe
	s_and_not1_saveexec_b32 s0, s1
	s_cbranch_execz .LBB0_16
; %bb.15:
	ds_store_b64 v69, v[0:1]
	ds_load_b64 v[0:1], v68 offset:4312
	v_mov_b32_e32 v2, 0
	s_wait_dscnt 0x0
	v_dual_mov_b32 v3, 0 :: v_dual_add_f32 v0, v0, v0
	v_mul_f32_e32 v1, -2.0, v1
	ds_store_b64 v68, v[0:1] offset:4312
.LBB0_16:
	s_wait_alu 0xfffe
	s_or_b32 exec_lo, exec_lo, s0
	v_lshlrev_b64_e32 v[0:1], 3, v[2:3]
	s_add_nc_u64 s[0:1], s[4:5], 0x21a0
                                        ; implicit-def: $vgpr65
	s_wait_alu 0xfffe
	s_delay_alu instid0(VALU_DEP_1) | instskip(SKIP_1) | instid1(VALU_DEP_2)
	v_add_co_u32 v0, s0, s0, v0
	s_wait_alu 0xf1ff
	v_add_co_ci_u32_e64 v1, s0, s1, v1, s0
	v_cmp_gt_u32_e64 s0, 21, v56
	s_clause 0x5
	global_load_b64 v[2:3], v[0:1], off offset:616
	global_load_b64 v[5:6], v[0:1], off offset:1232
	;; [unrolled: 1-line block ×6, first 2 shown]
	ds_load_b64 v[13:14], v69 offset:616
	ds_load_b64 v[15:16], v4 offset:8008
	s_wait_dscnt 0x0
	v_dual_add_f32 v17, v13, v15 :: v_dual_add_f32 v18, v16, v14
	v_sub_f32_e32 v19, v13, v15
	v_sub_f32_e32 v13, v14, v16
	s_wait_loadcnt 0x5
	s_delay_alu instid0(VALU_DEP_1) | instskip(NEXT) | instid1(VALU_DEP_3)
	v_fma_f32 v14, v18, v3, v13
	v_fma_f32 v20, v19, v3, v17
	v_fma_f32 v15, -v19, v3, v17
	s_delay_alu instid0(VALU_DEP_3) | instskip(SKIP_1) | instid1(VALU_DEP_4)
	v_fmac_f32_e32 v14, v19, v2
	v_fma_f32 v16, v18, v3, -v13
	v_fma_f32 v13, -v2, v18, v20
	s_delay_alu instid0(VALU_DEP_4) | instskip(NEXT) | instid1(VALU_DEP_3)
	v_fmac_f32_e32 v15, v2, v18
	v_fmac_f32_e32 v16, v19, v2
	ds_store_b64 v69, v[13:14] offset:616
	ds_store_b64 v4, v[15:16] offset:8008
	ds_load_b64 v[2:3], v69 offset:1232
	ds_load_b64 v[13:14], v4 offset:7392
	s_wait_dscnt 0x0
	v_add_f32_e32 v15, v2, v13
	v_sub_f32_e32 v17, v2, v13
	v_add_f32_e32 v16, v14, v3
	v_sub_f32_e32 v2, v3, v14
	s_wait_loadcnt 0x4
	s_delay_alu instid0(VALU_DEP_3) | instskip(SKIP_1) | instid1(VALU_DEP_3)
	v_fma_f32 v18, v17, v6, v15
	v_fma_f32 v13, -v17, v6, v15
	v_fma_f32 v3, v16, v6, v2
	s_delay_alu instid0(VALU_DEP_1) | instskip(SKIP_3) | instid1(VALU_DEP_3)
	v_fmac_f32_e32 v3, v17, v5
	v_fma_f32 v14, v16, v6, -v2
	v_fma_f32 v2, -v5, v16, v18
	v_fmac_f32_e32 v13, v5, v16
	v_fmac_f32_e32 v14, v17, v5
	ds_store_b64 v69, v[2:3] offset:1232
	ds_store_b64 v4, v[13:14] offset:7392
	ds_load_b64 v[2:3], v69 offset:1848
	ds_load_b64 v[5:6], v4 offset:6776
	s_wait_dscnt 0x0
	v_add_f32_e32 v14, v6, v3
	v_sub_f32_e32 v15, v2, v5
	v_dual_add_f32 v13, v2, v5 :: v_dual_sub_f32 v2, v3, v6
	s_wait_loadcnt 0x3
	s_delay_alu instid0(VALU_DEP_1) | instskip(SKIP_1) | instid1(VALU_DEP_2)
	v_fma_f32 v6, v14, v8, -v2
	v_fma_f32 v3, v14, v8, v2
	v_fmac_f32_e32 v6, v15, v7
	v_fma_f32 v16, v15, v8, v13
	v_fma_f32 v5, -v15, v8, v13
	s_delay_alu instid0(VALU_DEP_4) | instskip(NEXT) | instid1(VALU_DEP_3)
	v_fmac_f32_e32 v3, v15, v7
	v_fma_f32 v2, -v7, v14, v16
	s_delay_alu instid0(VALU_DEP_3)
	v_fmac_f32_e32 v5, v7, v14
	ds_store_b64 v69, v[2:3] offset:1848
	ds_store_b64 v4, v[5:6] offset:6776
	ds_load_b64 v[2:3], v69 offset:2464
	ds_load_b64 v[5:6], v4 offset:6160
	s_wait_dscnt 0x0
	v_add_f32_e32 v8, v6, v3
	v_add_f32_e32 v7, v2, v5
	v_dual_sub_f32 v13, v2, v5 :: v_dual_sub_f32 v2, v3, v6
	s_wait_loadcnt 0x2
	s_delay_alu instid0(VALU_DEP_1) | instskip(NEXT) | instid1(VALU_DEP_2)
	v_fma_f32 v14, v13, v10, v7
	v_fma_f32 v3, v8, v10, v2
	v_fma_f32 v5, -v13, v10, v7
	v_fma_f32 v6, v8, v10, -v2
	s_delay_alu instid0(VALU_DEP_4) | instskip(NEXT) | instid1(VALU_DEP_4)
	v_fma_f32 v2, -v9, v8, v14
	v_fmac_f32_e32 v3, v13, v9
	s_delay_alu instid0(VALU_DEP_4) | instskip(NEXT) | instid1(VALU_DEP_4)
	v_fmac_f32_e32 v5, v9, v8
	v_fmac_f32_e32 v6, v13, v9
	ds_store_b64 v69, v[2:3] offset:2464
	ds_store_b64 v4, v[5:6] offset:6160
	ds_load_b64 v[2:3], v69 offset:3080
	ds_load_b64 v[5:6], v4 offset:5544
	s_wait_dscnt 0x0
	v_add_f32_e32 v8, v6, v3
	v_add_f32_e32 v7, v2, v5
	v_dual_sub_f32 v9, v2, v5 :: v_dual_sub_f32 v2, v3, v6
	s_wait_loadcnt 0x1
	s_delay_alu instid0(VALU_DEP_1)
	v_fma_f32 v10, v9, v12, v7
	v_fma_f32 v5, -v9, v12, v7
	v_lshlrev_b32_e32 v7, 4, v56
	v_fma_f32 v3, v8, v12, v2
	v_fma_f32 v6, v8, v12, -v2
	v_fma_f32 v2, -v11, v8, v10
	v_fmac_f32_e32 v5, v11, v8
	v_lshl_add_u32 v8, v56, 3, 0
	v_add3_u32 v7, 0, v7, v70
	s_delay_alu instid0(VALU_DEP_2) | instskip(NEXT) | instid1(VALU_DEP_2)
	v_add_nc_u32_e32 v57, v8, v70
	v_add_nc_u32_e32 v38, 0xe70, v7
	v_fmac_f32_e32 v3, v9, v11
	v_fmac_f32_e32 v6, v9, v11
	ds_store_b64 v69, v[2:3] offset:3080
	ds_store_b64 v4, v[5:6] offset:5544
	ds_load_b64 v[2:3], v69 offset:3696
	ds_load_b64 v[5:6], v4 offset:4928
	v_add_nc_u32_e32 v40, 0x1810, v7
	v_add_nc_u32_e32 v37, 0x9a0, v7
	;; [unrolled: 1-line block ×4, first 2 shown]
	s_wait_dscnt 0x0
	v_add_f32_e32 v9, v2, v5
	v_add_f32_e32 v10, v6, v3
	v_sub_f32_e32 v11, v2, v5
	v_sub_f32_e32 v3, v3, v6
	s_wait_loadcnt 0x0
	s_delay_alu instid0(VALU_DEP_2) | instskip(NEXT) | instid1(VALU_DEP_2)
	v_fma_f32 v8, v11, v1, v9
	v_fma_f32 v2, v10, v1, v3
	v_fma_f32 v5, -v11, v1, v9
	v_fma_f32 v6, v10, v1, -v3
	s_delay_alu instid0(VALU_DEP_4) | instskip(NEXT) | instid1(VALU_DEP_4)
	v_fma_f32 v1, -v0, v10, v8
	v_fmac_f32_e32 v2, v11, v0
	s_delay_alu instid0(VALU_DEP_4) | instskip(NEXT) | instid1(VALU_DEP_4)
	v_dual_fmac_f32 v5, v0, v10 :: v_dual_add_nc_u32 v8, 0x1000, v57
	v_fmac_f32_e32 v6, v11, v0
	ds_store_b64 v69, v[1:2] offset:3696
	ds_store_b64 v4, v[5:6] offset:4928
	global_wb scope:SCOPE_SE
	s_wait_dscnt 0x0
	s_barrier_signal -1
	s_barrier_wait -1
	global_inv scope:SCOPE_SE
	global_wb scope:SCOPE_SE
	s_barrier_signal -1
	s_barrier_wait -1
	global_inv scope:SCOPE_SE
	ds_load_2addr_b64 v[13:16], v8 offset0:27 offset1:104
	ds_load_b64 v[5:6], v69
	ds_load_2addr_b64 v[17:20], v57 offset0:77 offset1:154
	s_wait_dscnt 0x1
	v_sub_f32_e32 v10, v6, v14
	s_wait_dscnt 0x0
	v_sub_f32_e32 v14, v18, v16
	v_add_nc_u32_e32 v12, 0x1800, v57
	v_add_nc_u32_e32 v0, 0x400, v57
	v_add_nc_u32_e32 v2, 0x800, v57
	v_sub_f32_e32 v9, v5, v13
	v_sub_f32_e32 v13, v17, v15
	ds_load_2addr_b64 v[29:32], v12 offset0:79 offset1:156
	ds_load_2addr_b64 v[25:28], v0 offset0:103 offset1:180
	v_add_nc_u32_e32 v11, 0x1400, v57
	ds_load_2addr_b64 v[33:36], v2 offset0:129 offset1:206
	ds_load_b64 v[0:1], v57 offset:8008
	v_add_nc_u32_e32 v71, 0x4d, v56
	v_fma_f32 v5, v5, 2.0, -v9
	ds_load_2addr_b64 v[21:24], v11 offset0:53 offset1:130
	v_add_nc_u32_e32 v4, 0xc00, v57
	v_fma_f32 v6, v6, 2.0, -v10
	v_fma_f32 v17, v17, 2.0, -v13
	v_fma_f32 v18, v18, 2.0, -v14
	global_wb scope:SCOPE_SE
	s_wait_dscnt 0x0
	s_barrier_signal -1
	s_barrier_wait -1
	global_inv scope:SCOPE_SE
	v_dual_sub_f32 v60, v33, v31 :: v_dual_sub_f32 v61, v34, v32
	v_dual_sub_f32 v0, v35, v0 :: v_dual_sub_f32 v1, v36, v1
	v_sub_f32_e32 v16, v20, v22
	v_sub_f32_e32 v22, v26, v24
	v_dual_sub_f32 v24, v28, v30 :: v_dual_lshlrev_b32 v3, 4, v71
	v_sub_f32_e32 v15, v19, v21
	v_sub_f32_e32 v21, v25, v23
	;; [unrolled: 1-line block ×3, first 2 shown]
	v_fma_f32 v20, v20, 2.0, -v16
	v_add3_u32 v3, 0, v3, v70
	v_fma_f32 v19, v19, 2.0, -v15
	v_fma_f32 v25, v25, 2.0, -v21
	;; [unrolled: 1-line block ×9, first 2 shown]
	ds_store_2addr_b64 v7, v[5:6], v[9:10] offset1:1
	ds_store_2addr_b64 v3, v[17:18], v[13:14] offset1:1
	;; [unrolled: 1-line block ×7, first 2 shown]
	global_wb scope:SCOPE_SE
	s_wait_dscnt 0x0
	s_barrier_signal -1
	s_barrier_wait -1
	global_inv scope:SCOPE_SE
	ds_load_b64 v[66:67], v69
	ds_load_2addr_b64 v[32:35], v57 offset0:98 offset1:196
	ds_load_2addr_b64 v[28:31], v2 offset0:38 offset1:136
	;; [unrolled: 1-line block ×5, first 2 shown]
                                        ; implicit-def: $vgpr3
                                        ; implicit-def: $vgpr5
                                        ; implicit-def: $vgpr15
                                        ; implicit-def: $vgpr11
	s_and_saveexec_b32 s1, s0
	s_cbranch_execz .LBB0_18
; %bb.17:
	ds_load_2addr_b64 v[36:39], v57 offset0:77 offset1:175
	ds_load_2addr_b64 v[0:3], v2 offset0:17 offset1:115
	;; [unrolled: 1-line block ×5, first 2 shown]
	ds_load_b64 v[64:65], v57 offset:8456
	s_wait_dscnt 0x5
	v_dual_mov_b32 v61, v37 :: v_dual_mov_b32 v60, v36
	v_dual_mov_b32 v63, v39 :: v_dual_mov_b32 v62, v38
.LBB0_18:
	s_wait_alu 0xfffe
	s_or_b32 exec_lo, exec_lo, s1
	v_and_b32_e32 v72, 1, v56
	v_lshrrev_b32_e32 v73, 1, v56
	s_delay_alu instid0(VALU_DEP_2) | instskip(NEXT) | instid1(VALU_DEP_2)
	v_mul_u32_u24_e32 v36, 10, v72
	v_mul_u32_u24_e32 v73, 22, v73
	s_delay_alu instid0(VALU_DEP_2) | instskip(NEXT) | instid1(VALU_DEP_2)
	v_lshlrev_b32_e32 v52, 3, v36
	v_or_b32_e32 v72, v73, v72
	s_clause 0x4
	global_load_b128 v[48:51], v52, s[4:5]
	global_load_b128 v[44:47], v52, s[4:5] offset:16
	global_load_b128 v[40:43], v52, s[4:5] offset:32
	;; [unrolled: 1-line block ×4, first 2 shown]
	v_lshlrev_b32_e32 v72, 3, v72
	global_wb scope:SCOPE_SE
	s_wait_loadcnt_dscnt 0x0
	s_barrier_signal -1
	s_barrier_wait -1
	global_inv scope:SCOPE_SE
	v_mul_f32_e32 v73, v49, v33
	v_mul_f32_e32 v75, v45, v29
	v_dual_mul_f32 v49, v49, v32 :: v_dual_mul_f32 v74, v51, v35
	v_dual_mul_f32 v45, v45, v28 :: v_dual_mul_f32 v76, v47, v31
	;; [unrolled: 1-line block ×3, first 2 shown]
	v_mul_f32_e32 v81, v17, v53
	v_fma_f32 v32, v48, v32, -v73
	v_mul_f32_e32 v37, v37, v20
	v_mul_f32_e32 v51, v51, v34
	v_dual_mul_f32 v77, v41, v25 :: v_dual_mul_f32 v78, v43, v27
	v_dual_mul_f32 v41, v41, v24 :: v_dual_mul_f32 v80, v39, v23
	v_fma_f32 v20, v36, v20, -v79
	v_fmac_f32_e32 v45, v44, v29
	v_fmac_f32_e32 v49, v48, v33
	v_fma_f32 v33, v50, v34, -v74
	v_fma_f32 v29, v46, v30, -v76
	;; [unrolled: 1-line block ×3, first 2 shown]
	v_mul_f32_e32 v53, v16, v53
	v_add_f32_e32 v16, v32, v66
	v_fmac_f32_e32 v37, v36, v21
	v_fma_f32 v36, v18, v54, -v82
	v_mul_f32_e32 v47, v47, v30
	v_mul_f32_e32 v43, v43, v26
	v_dual_mul_f32 v55, v18, v55 :: v_dual_sub_f32 v30, v33, v34
	v_fma_f32 v28, v44, v28, -v75
	v_fma_f32 v21, v38, v22, -v80
	v_dual_mul_f32 v39, v39, v22 :: v_dual_add_f32 v18, v32, v36
	v_dual_fmac_f32 v47, v46, v31 :: v_dual_sub_f32 v44, v29, v20
	v_sub_f32_e32 v22, v32, v36
	v_fmac_f32_e32 v41, v40, v25
	s_delay_alu instid0(VALU_DEP_3)
	v_dual_fmac_f32 v43, v42, v27 :: v_dual_sub_f32 v46, v47, v37
	v_fma_f32 v24, v40, v24, -v77
	v_fma_f32 v25, v42, v26, -v78
	v_dual_fmac_f32 v55, v19, v54 :: v_dual_add_f32 v32, v28, v21
	v_mul_f32_e32 v76, 0xbf7d64f0, v22
	v_add_f32_e32 v54, v41, v43
	v_dual_fmac_f32 v39, v38, v23 :: v_dual_add_f32 v48, v47, v37
	v_dual_fmac_f32 v51, v50, v35 :: v_dual_sub_f32 v38, v28, v21
	v_add_f32_e32 v26, v33, v34
	v_dual_fmac_f32 v53, v17, v52 :: v_dual_sub_f32 v52, v24, v25
	v_add_f32_e32 v42, v29, v20
	v_sub_f32_e32 v40, v45, v39
	v_dual_add_f32 v17, v49, v67 :: v_dual_add_f32 v16, v16, v33
	v_dual_add_f32 v50, v24, v25 :: v_dual_sub_f32 v23, v49, v55
	v_dual_add_f32 v19, v49, v55 :: v_dual_mul_f32 v78, 0xbf4178ce, v22
	v_dual_add_f32 v27, v51, v53 :: v_dual_mul_f32 v80, 0xbf68dda4, v30
	v_dual_sub_f32 v31, v51, v53 :: v_dual_mul_f32 v82, 0xbf4178ce, v30
	v_add_f32_e32 v17, v17, v51
	v_dual_mul_f32 v51, 0xbf0a6770, v22 :: v_dual_add_f32 v16, v16, v28
	v_mul_f32_e32 v74, 0xbf68dda4, v22
	v_mul_f32_e32 v22, 0xbe903f40, v22
	v_dual_mul_f32 v33, 0xbf0a6770, v23 :: v_dual_mul_f32 v94, 0xbf0a6770, v38
	v_dual_sub_f32 v49, v41, v43 :: v_dual_mul_f32 v86, 0x3f7d64f0, v30
	v_dual_mul_f32 v75, 0xbf7d64f0, v23 :: v_dual_mul_f32 v88, 0xbf7d64f0, v38
	s_delay_alu instid0(VALU_DEP_3)
	v_fma_f32 v28, 0x3f575c64, v18, -v33
	v_mul_f32_e32 v73, 0xbf68dda4, v23
	v_dual_add_f32 v35, v45, v39 :: v_dual_mul_f32 v84, 0x3e903f40, v30
	v_mul_f32_e32 v77, 0xbf4178ce, v23
	v_dual_mul_f32 v23, 0xbe903f40, v23 :: v_dual_mul_f32 v98, 0xbe903f40, v46
	v_mul_f32_e32 v81, 0xbf4178ce, v31
	v_dual_mul_f32 v83, 0x3e903f40, v31 :: v_dual_mul_f32 v90, 0x3e903f40, v38
	v_dual_mul_f32 v85, 0x3f7d64f0, v31 :: v_dual_mul_f32 v96, 0x3f7d64f0, v46
	v_mul_f32_e32 v30, 0x3f0a6770, v30
	v_dual_mul_f32 v91, 0x3f68dda4, v40 :: v_dual_mul_f32 v92, 0x3f68dda4, v38
	v_dual_mul_f32 v97, 0xbf0a6770, v46 :: v_dual_add_f32 v16, v16, v29
	v_mul_f32_e32 v104, 0x3f0a6770, v49
	v_add_f32_e32 v17, v17, v45
	v_fmamk_f32 v45, v19, 0x3f575c64, v51
	v_dual_fmac_f32 v33, 0x3f575c64, v18 :: v_dual_fmamk_f32 v126, v27, 0x3f575c64, v30
	v_fma_f32 v113, 0xbe11bafb, v18, -v75
	v_mul_f32_e32 v89, 0x3e903f40, v40
	v_dual_fmamk_f32 v114, v19, 0xbe11bafb, v76 :: v_dual_fmac_f32 v75, 0xbe11bafb, v18
	v_fma_f32 v76, 0xbe11bafb, v19, -v76
	v_dual_mul_f32 v93, 0xbf0a6770, v40 :: v_dual_add_f32 v28, v28, v66
	v_fma_f32 v111, 0x3ed4b147, v18, -v73
	v_mul_f32_e32 v79, 0xbf68dda4, v31
	v_mul_f32_e32 v31, 0x3f0a6770, v31
	v_dual_fmamk_f32 v112, v19, 0x3ed4b147, v74 :: v_dual_fmac_f32 v73, 0x3ed4b147, v18
	v_fma_f32 v74, 0x3ed4b147, v19, -v74
	v_mul_f32_e32 v87, 0xbf7d64f0, v40
	v_mul_f32_e32 v40, 0xbf4178ce, v40
	v_fmamk_f32 v116, v19, 0xbf27a4f4, v78
	v_fma_f32 v78, 0xbf27a4f4, v19, -v78
	v_mul_f32_e32 v95, 0xbf4178ce, v46
	v_mul_f32_e32 v46, 0x3f68dda4, v46
	;; [unrolled: 1-line block ×3, first 2 shown]
	v_dual_mul_f32 v102, 0xbe903f40, v44 :: v_dual_mul_f32 v103, 0xbe903f40, v49
	v_mul_f32_e32 v108, 0x3f0a6770, v52
	v_dual_mul_f32 v110, 0x3f68dda4, v52 :: v_dual_add_f32 v73, v73, v66
	v_fma_f32 v51, 0x3f575c64, v19, -v51
	v_mul_f32_e32 v106, 0x3f68dda4, v49
	v_fma_f32 v115, 0xbf27a4f4, v18, -v77
	v_mul_f32_e32 v99, 0xbf4178ce, v44
	v_fmac_f32_e32 v77, 0xbf27a4f4, v18
	v_fma_f32 v117, 0xbf75a155, v18, -v23
	v_mul_f32_e32 v101, 0xbf0a6770, v44
	v_dual_fmamk_f32 v118, v19, 0xbf75a155, v22 :: v_dual_fmac_f32 v23, 0xbf75a155, v18
	v_fma_f32 v18, 0xbf75a155, v19, -v22
	v_mul_f32_e32 v105, 0xbf4178ce, v49
	v_mul_f32_e32 v49, 0xbf7d64f0, v49
	v_fma_f32 v19, 0x3ed4b147, v26, -v79
	v_dual_fmamk_f32 v22, v27, 0x3ed4b147, v80 :: v_dual_fmac_f32 v79, 0x3ed4b147, v26
	v_fma_f32 v142, 0x3f575c64, v50, -v104
	v_fmac_f32_e32 v104, 0x3f575c64, v50
	v_dual_mul_f32 v100, 0x3f7d64f0, v44 :: v_dual_add_f32 v45, v45, v67
	v_dual_mul_f32 v44, 0x3f68dda4, v44 :: v_dual_add_f32 v33, v33, v66
	v_mul_f32_e32 v107, 0xbe903f40, v52
	v_mul_f32_e32 v109, 0xbf4178ce, v52
	;; [unrolled: 1-line block ×3, first 2 shown]
	v_fma_f32 v80, 0x3ed4b147, v27, -v80
	v_fma_f32 v119, 0xbf27a4f4, v26, -v81
	v_dual_fmamk_f32 v120, v27, 0xbf27a4f4, v82 :: v_dual_fmac_f32 v81, 0xbf27a4f4, v26
	v_fma_f32 v82, 0xbf27a4f4, v27, -v82
	v_fma_f32 v121, 0xbf75a155, v26, -v83
	v_dual_fmamk_f32 v122, v27, 0xbf75a155, v84 :: v_dual_fmac_f32 v83, 0xbf75a155, v26
	;; [unrolled: 3-line block ×3, first 2 shown]
	v_fma_f32 v86, 0xbe11bafb, v27, -v86
	v_fma_f32 v125, 0x3f575c64, v26, -v31
	v_dual_fmac_f32 v31, 0x3f575c64, v26 :: v_dual_fmamk_f32 v132, v35, 0x3f575c64, v94
	v_fma_f32 v26, 0x3f575c64, v27, -v30
	v_fma_f32 v127, 0xbf75a155, v32, -v89
	v_dual_fmamk_f32 v128, v35, 0xbf75a155, v90 :: v_dual_fmac_f32 v89, 0xbf75a155, v32
	v_fma_f32 v90, 0xbf75a155, v35, -v90
	v_fma_f32 v129, 0x3ed4b147, v32, -v91
	v_dual_fmamk_f32 v130, v35, 0x3ed4b147, v92 :: v_dual_fmac_f32 v91, 0x3ed4b147, v32
	v_fma_f32 v92, 0x3ed4b147, v35, -v92
	v_fma_f32 v94, 0x3f575c64, v35, -v94
	;; [unrolled: 1-line block ×4, first 2 shown]
	v_dual_fmac_f32 v97, 0x3f575c64, v42 :: v_dual_add_f32 v16, v16, v24
	v_fma_f32 v136, 0xbf75a155, v42, -v98
	v_fmac_f32_e32 v98, 0xbf75a155, v42
	v_fma_f32 v137, 0x3ed4b147, v42, -v46
	v_dual_fmac_f32 v46, 0x3ed4b147, v42 :: v_dual_add_f32 v17, v17, v47
	v_fmamk_f32 v138, v48, 0xbe11bafb, v100
	v_fma_f32 v100, 0xbe11bafb, v48, -v100
	v_fmamk_f32 v139, v48, 0x3f575c64, v101
	v_fma_f32 v101, 0x3f575c64, v48, -v101
	;; [unrolled: 2-line block ×3, first 2 shown]
	v_fma_f32 v145, 0xbe11bafb, v50, -v49
	v_fmac_f32_e32 v49, 0xbe11bafb, v50
	v_fmamk_f32 v146, v54, 0x3f575c64, v108
	v_fma_f32 v108, 0x3f575c64, v54, -v108
	v_dual_fmamk_f32 v148, v54, 0x3ed4b147, v110 :: v_dual_add_f32 v23, v23, v66
	v_fma_f32 v110, 0x3ed4b147, v54, -v110
	v_fmamk_f32 v149, v54, 0xbe11bafb, v52
	v_fma_f32 v52, 0xbe11bafb, v54, -v52
	v_add_f32_e32 v51, v51, v67
	v_fma_f32 v144, 0x3ed4b147, v50, -v106
	v_dual_fmac_f32 v106, 0x3ed4b147, v50 :: v_dual_add_f32 v29, v118, v67
	v_add_f32_e32 v74, v74, v67
	v_fma_f32 v27, 0xbe11bafb, v32, -v87
	v_dual_fmamk_f32 v30, v35, 0xbe11bafb, v88 :: v_dual_fmac_f32 v87, 0xbe11bafb, v32
	v_fma_f32 v88, 0xbe11bafb, v35, -v88
	v_add_f32_e32 v75, v75, v66
	v_fmamk_f32 v141, v48, 0x3ed4b147, v44
	v_fma_f32 v44, 0x3ed4b147, v48, -v44
	v_add_f32_e32 v76, v76, v67
	v_fma_f32 v131, 0x3f575c64, v32, -v93
	v_dual_fmac_f32 v93, 0x3f575c64, v32 :: v_dual_add_f32 v78, v78, v67
	v_fmamk_f32 v134, v35, 0xbf27a4f4, v38
	v_add_f32_e32 v18, v18, v67
	v_fmac_f32_e32 v40, 0xbf27a4f4, v32
	v_fma_f32 v32, 0xbf27a4f4, v35, -v38
	v_fma_f32 v35, 0xbf27a4f4, v42, -v95
	v_fmac_f32_e32 v95, 0xbf27a4f4, v42
	v_fma_f32 v38, 0xbe11bafb, v42, -v96
	v_fmac_f32_e32 v96, 0xbe11bafb, v42
	v_fmamk_f32 v42, v48, 0xbf27a4f4, v99
	v_fma_f32 v99, 0xbf27a4f4, v48, -v99
	v_fma_f32 v48, 0xbf75a155, v50, -v103
	v_fmac_f32_e32 v103, 0xbf75a155, v50
	v_fma_f32 v143, 0xbf27a4f4, v50, -v105
	v_dual_fmac_f32 v105, 0xbf27a4f4, v50 :: v_dual_add_f32 v22, v22, v45
	v_dual_fmamk_f32 v50, v54, 0xbf75a155, v107 :: v_dual_add_f32 v77, v77, v66
	v_fma_f32 v107, 0xbf75a155, v54, -v107
	v_dual_add_f32 v24, v79, v33 :: v_dual_fmamk_f32 v147, v54, 0xbf27a4f4, v109
	v_fma_f32 v109, 0xbf27a4f4, v54, -v109
	v_dual_add_f32 v54, v111, v66 :: v_dual_add_f32 v111, v112, v67
	v_dual_add_f32 v112, v113, v66 :: v_dual_add_f32 v113, v114, v67
	v_add_f32_e32 v114, v115, v66
	s_delay_alu instid0(VALU_DEP_3)
	v_dual_add_f32 v33, v119, v54 :: v_dual_add_f32 v16, v16, v25
	v_dual_add_f32 v115, v116, v67 :: v_dual_add_f32 v116, v117, v66
	v_add_f32_e32 v17, v17, v41
	v_dual_add_f32 v19, v19, v28 :: v_dual_add_f32 v18, v26, v18
	v_add_f32_e32 v28, v80, v51
	v_dual_add_f32 v41, v120, v111 :: v_dual_add_f32 v22, v30, v22
	v_dual_add_f32 v45, v81, v73 :: v_dual_add_f32 v24, v87, v24
	;; [unrolled: 1-line block ×6, first 2 shown]
	v_add_f32_e32 v76, v86, v78
	v_add_f32_e32 v73, v123, v114
	;; [unrolled: 1-line block ×3, first 2 shown]
	v_dual_add_f32 v29, v126, v29 :: v_dual_add_f32 v16, v16, v20
	v_add_f32_e32 v17, v17, v43
	v_add_f32_e32 v30, v90, v47
	v_dual_add_f32 v19, v27, v19 :: v_dual_add_f32 v20, v42, v22
	v_add_f32_e32 v23, v31, v23
	v_add_f32_e32 v31, v129, v51
	;; [unrolled: 1-line block ×3, first 2 shown]
	v_dual_add_f32 v25, v88, v28 :: v_dual_add_f32 v28, v89, v45
	v_dual_add_f32 v22, v95, v24 :: v_dual_add_f32 v51, v93, v75
	;; [unrolled: 1-line block ×3, first 2 shown]
	s_delay_alu instid0(VALU_DEP_3) | instskip(NEXT) | instid1(VALU_DEP_4)
	v_dual_add_f32 v24, v99, v25 :: v_dual_add_f32 v25, v38, v26
	v_dual_add_f32 v26, v138, v27 :: v_dual_add_f32 v27, v96, v28
	v_add_f32_e32 v28, v100, v30
	v_add_f32_e32 v38, v98, v51
	v_dual_add_f32 v33, v130, v54 :: v_dual_add_f32 v32, v97, v41
	v_dual_add_f32 v54, v94, v76 :: v_dual_add_f32 v45, v131, v73
	;; [unrolled: 1-line block ×3, first 2 shown]
	v_add_f32_e32 v30, v135, v31
	v_add_f32_e32 v66, v133, v77
	s_delay_alu instid0(VALU_DEP_4)
	v_add_f32_e32 v35, v136, v45
	v_add_f32_e32 v45, v16, v21
	v_dual_add_f32 v21, v146, v26 :: v_dual_add_f32 v26, v105, v32
	v_dual_add_f32 v29, v134, v29 :: v_dual_add_f32 v16, v48, v19
	v_add_f32_e32 v47, v132, v74
	v_add_f32_e32 v19, v107, v24
	;; [unrolled: 1-line block ×3, first 2 shown]
	s_delay_alu instid0(VALU_DEP_4)
	v_add_f32_e32 v42, v141, v29
	v_add_f32_e32 v17, v17, v37
	;; [unrolled: 1-line block ×5, first 2 shown]
	v_dual_add_f32 v37, v140, v47 :: v_dual_add_f32 v18, v103, v22
	v_add_f32_e32 v22, v104, v27
	v_add_f32_e32 v39, v17, v39
	s_delay_alu instid0(VALU_DEP_4) | instskip(SKIP_2) | instid1(VALU_DEP_4)
	v_add_f32_e32 v32, v145, v41
	v_dual_add_f32 v31, v139, v33 :: v_dual_add_f32 v30, v106, v38
	v_dual_add_f32 v40, v102, v54 :: v_dual_add_f32 v33, v101, v43
	;; [unrolled: 1-line block ×3, first 2 shown]
	v_add_f32_e32 v20, v142, v25
	v_add_f32_e32 v29, v148, v37
	;; [unrolled: 1-line block ×4, first 2 shown]
	v_add3_u32 v72, 0, v72, v70
	v_add_f32_e32 v25, v147, v31
	v_add_f32_e32 v23, v108, v28
	;; [unrolled: 1-line block ×6, first 2 shown]
	v_dual_add_f32 v28, v144, v35 :: v_dual_add_f32 v31, v110, v40
	v_add_f32_e32 v35, v52, v44
	v_add_f32_e32 v37, v38, v55
	ds_store_2addr_b64 v72, v[20:21], v[24:25] offset0:4 offset1:6
	ds_store_2addr_b64 v72, v[28:29], v[32:33] offset0:8 offset1:10
	;; [unrolled: 1-line block ×4, first 2 shown]
	ds_store_2addr_b64 v72, v[36:37], v[16:17] offset1:2
	ds_store_b64 v72, v[18:19] offset:160
	s_and_saveexec_b32 s1, s0
	s_cbranch_execz .LBB0_20
; %bb.19:
	v_and_b32_e32 v36, 1, v71
	v_lshrrev_b32_e32 v37, 1, v71
	s_delay_alu instid0(VALU_DEP_2) | instskip(NEXT) | instid1(VALU_DEP_2)
	v_mul_u32_u24_e32 v16, 10, v36
	v_mul_u32_u24_e32 v37, 22, v37
	s_delay_alu instid0(VALU_DEP_2) | instskip(NEXT) | instid1(VALU_DEP_2)
	v_lshlrev_b32_e32 v32, 3, v16
	v_or_b32_e32 v36, v37, v36
	s_clause 0x4
	global_load_b128 v[16:19], v32, s[4:5]
	global_load_b128 v[20:23], v32, s[4:5] offset:64
	global_load_b128 v[24:27], v32, s[4:5] offset:16
	global_load_b128 v[28:31], v32, s[4:5] offset:48
	global_load_b128 v[32:35], v32, s[4:5] offset:32
	s_wait_loadcnt 0x4
	v_dual_mul_f32 v37, v63, v17 :: v_dual_lshlrev_b32 v36, 3, v36
	s_wait_loadcnt 0x3
	v_dual_mul_f32 v17, v62, v17 :: v_dual_mul_f32 v38, v65, v23
	v_dual_mul_f32 v39, v1, v19 :: v_dual_mul_f32 v40, v15, v21
	s_wait_loadcnt 0x1
	v_dual_mul_f32 v41, v3, v25 :: v_dual_mul_f32 v42, v13, v31
	s_wait_loadcnt 0x0
	v_dual_mul_f32 v25, v2, v25 :: v_dual_mul_f32 v46, v9, v35
	v_mul_f32_e32 v21, v14, v21
	v_dual_mul_f32 v19, v0, v19 :: v_dual_mul_f32 v44, v11, v29
	v_fma_f32 v37, v62, v16, -v37
	v_fma_f32 v38, v64, v22, -v38
	;; [unrolled: 1-line block ×3, first 2 shown]
	v_fmac_f32_e32 v25, v3, v24
	v_fmac_f32_e32 v17, v63, v16
	v_fma_f32 v16, v14, v20, -v40
	v_mul_f32_e32 v43, v5, v27
	v_mul_f32_e32 v27, v4, v27
	;; [unrolled: 1-line block ×3, first 2 shown]
	v_fma_f32 v12, v12, v30, -v42
	v_fma_f32 v3, v10, v28, -v44
	v_dual_fmac_f32 v21, v15, v20 :: v_dual_add_f32 v20, v37, v38
	v_fmac_f32_e32 v27, v5, v26
	v_fmac_f32_e32 v19, v1, v18
	v_fma_f32 v1, v2, v24, -v41
	v_mul_f32_e32 v29, v10, v29
	v_mul_f32_e32 v23, v64, v23
	v_fma_f32 v5, v8, v34, -v46
	v_add_f32_e32 v24, v0, v16
	v_sub_f32_e32 v10, v1, v12
	v_fmac_f32_e32 v29, v11, v28
	v_mul_f32_e32 v35, v8, v35
	v_dual_sub_f32 v8, v0, v16 :: v_dual_fmac_f32 v23, v65, v22
	v_fma_f32 v2, v4, v26, -v43
	v_add_f32_e32 v28, v1, v12
	v_add3_u32 v36, 0, v36, v70
	s_delay_alu instid0(VALU_DEP_4)
	v_mul_f32_e32 v42, 0x3f0a6770, v8
	v_dual_add_f32 v14, v27, v29 :: v_dual_fmac_f32 v35, v9, v34
	v_mul_f32_e32 v45, v7, v33
	v_dual_mul_f32 v33, v6, v33 :: v_dual_sub_f32 v22, v17, v23
	v_sub_f32_e32 v34, v27, v29
	v_mul_f32_e32 v72, 0x3e903f40, v8
	v_mul_f32_e32 v52, 0x3f7d64f0, v8
	s_delay_alu instid0(VALU_DEP_4) | instskip(SKIP_3) | instid1(VALU_DEP_4)
	v_dual_fmac_f32 v33, v7, v32 :: v_dual_mul_f32 v46, 0xbe903f40, v22
	v_mul_f32_e32 v62, 0xbf4178ce, v22
	v_mul_f32_e32 v76, 0xbf7d64f0, v22
	;; [unrolled: 1-line block ×3, first 2 shown]
	v_dual_sub_f32 v40, v33, v35 :: v_dual_mul_f32 v43, 0xbf4178ce, v10
	v_mul_f32_e32 v8, 0xbf68dda4, v8
	s_delay_alu instid0(VALU_DEP_4) | instskip(SKIP_1) | instid1(VALU_DEP_4)
	v_fma_f32 v114, 0xbe11bafb, v20, -v76
	v_mul_f32_e32 v65, 0xbe903f40, v34
	v_mul_f32_e32 v50, 0xbf7d64f0, v40
	v_add_f32_e32 v18, v33, v35
	v_fma_f32 v4, v6, v32, -v45
	v_sub_f32_e32 v6, v37, v38
	v_dual_add_f32 v32, v2, v3 :: v_dual_fmac_f32 v31, v13, v30
	v_dual_sub_f32 v26, v19, v21 :: v_dual_sub_f32 v13, v2, v3
	v_add_f32_e32 v37, v60, v37
	s_delay_alu instid0(VALU_DEP_3)
	v_dual_add_f32 v9, v19, v21 :: v_dual_sub_f32 v30, v25, v31
	v_add_f32_e32 v7, v17, v23
	v_sub_f32_e32 v15, v4, v5
	v_add_f32_e32 v17, v61, v17
	v_dual_mul_f32 v41, 0xbe903f40, v6 :: v_dual_mul_f32 v54, 0xbe903f40, v13
	v_mul_f32_e32 v48, 0xbf4178ce, v30
	v_dual_mul_f32 v49, 0x3f68dda4, v34 :: v_dual_add_f32 v0, v37, v0
	v_mul_f32_e32 v51, 0xbf4178ce, v6
	v_dual_mul_f32 v63, 0x3f7d64f0, v26 :: v_dual_mul_f32 v84, 0x3f7d64f0, v13
	s_delay_alu instid0(VALU_DEP_3)
	v_dual_mul_f32 v67, 0xbf7d64f0, v6 :: v_dual_add_f32 v0, v0, v1
	v_mul_f32_e32 v81, 0xbf68dda4, v6
	v_dual_mul_f32 v86, 0xbf68dda4, v22 :: v_dual_add_f32 v17, v17, v19
	v_add_f32_e32 v11, v25, v31
	v_dual_add_f32 v39, v4, v5 :: v_dual_mul_f32 v66, 0x3f68dda4, v40
	v_mul_f32_e32 v44, 0x3f68dda4, v13
	v_dual_mul_f32 v47, 0x3f0a6770, v26 :: v_dual_mul_f32 v90, 0x3f0a6770, v40
	v_dual_mul_f32 v53, 0xbf0a6770, v10 :: v_dual_mul_f32 v74, 0xbf0a6770, v13
	v_mul_f32_e32 v64, 0xbf0a6770, v30
	v_mul_f32_e32 v45, 0xbf7d64f0, v15
	v_dual_mul_f32 v55, 0x3f68dda4, v15 :: v_dual_mul_f32 v78, 0x3f68dda4, v30
	v_dual_fmamk_f32 v19, v7, 0xbf75a155, v41 :: v_dual_fmamk_f32 v102, v14, 0xbf75a155, v54
	v_mul_f32_e32 v73, 0x3f68dda4, v10
	v_fma_f32 v96, 0xbf27a4f4, v28, -v48
	v_dual_fmamk_f32 v99, v7, 0xbf27a4f4, v51 :: v_dual_fmac_f32 v48, 0xbf27a4f4, v28
	v_mul_f32_e32 v6, 0xbf0a6770, v6
	v_dual_fmamk_f32 v109, v7, 0xbe11bafb, v67 :: v_dual_fmamk_f32 v122, v14, 0xbe11bafb, v84
	v_mul_f32_e32 v22, 0xbf0a6770, v22
	v_fmamk_f32 v119, v7, 0x3ed4b147, v81
	v_fma_f32 v124, 0x3ed4b147, v20, -v86
	v_mul_f32_e32 v83, 0x3e903f40, v10
	v_mul_f32_e32 v10, 0xbf7d64f0, v10
	v_dual_mul_f32 v75, 0xbf4178ce, v15 :: v_dual_mul_f32 v80, 0xbf4178ce, v40
	v_dual_mul_f32 v88, 0x3e903f40, v30 :: v_dual_add_f32 v17, v17, v25
	v_dual_fmamk_f32 v91, v11, 0xbf27a4f4, v43 :: v_dual_fmamk_f32 v120, v9, 0xbf27a4f4, v82
	v_fmamk_f32 v92, v14, 0x3ed4b147, v44
	v_dual_fmamk_f32 v93, v18, 0xbe11bafb, v45 :: v_dual_fmamk_f32 v100, v9, 0xbe11bafb, v52
	v_fma_f32 v94, 0xbf75a155, v20, -v46
	v_fma_f32 v95, 0x3f575c64, v24, -v47
	v_dual_fmamk_f32 v101, v11, 0x3f575c64, v53 :: v_dual_fmamk_f32 v112, v14, 0x3f575c64, v74
	v_dual_fmamk_f32 v103, v18, 0x3ed4b147, v55 :: v_dual_fmamk_f32 v130, v9, 0x3ed4b147, v8
	v_fma_f32 v104, 0xbf27a4f4, v20, -v62
	v_fma_f32 v108, 0x3ed4b147, v39, -v66
	v_fmamk_f32 v110, v9, 0xbf75a155, v72
	v_fma_f32 v134, 0x3f575c64, v20, -v22
	v_mul_f32_e32 v13, 0xbf4178ce, v13
	v_fma_f32 v1, 0xbf75a155, v7, -v41
	v_fma_f32 v25, 0x3f575c64, v9, -v42
	;; [unrolled: 1-line block ×4, first 2 shown]
	v_fmac_f32_e32 v46, 0xbf75a155, v20
	v_fmamk_f32 v37, v9, 0x3f575c64, v42
	v_fma_f32 v42, 0x3ed4b147, v14, -v44
	v_fma_f32 v44, 0xbf27a4f4, v7, -v51
	;; [unrolled: 1-line block ×6, first 2 shown]
	v_fmac_f32_e32 v62, 0xbf27a4f4, v20
	v_fmac_f32_e32 v66, 0x3ed4b147, v39
	v_mul_f32_e32 v79, 0xbf0a6770, v34
	v_fma_f32 v54, 0xbe11bafb, v7, -v67
	v_fmamk_f32 v129, v7, 0x3f575c64, v6
	v_fma_f32 v55, 0xbf75a155, v9, -v72
	v_fma_f32 v72, 0x3f575c64, v14, -v74
	v_fmac_f32_e32 v76, 0xbe11bafb, v20
	v_fma_f32 v74, 0x3ed4b147, v7, -v81
	v_fmamk_f32 v131, v11, 0xbe11bafb, v10
	v_fma_f32 v6, 0x3f575c64, v7, -v6
	v_fma_f32 v7, 0x3ed4b147, v9, -v8
	;; [unrolled: 1-line block ×3, first 2 shown]
	v_fmac_f32_e32 v22, 0x3f575c64, v20
	v_dual_add_f32 v10, v61, v19 :: v_dual_add_f32 v19, v60, v114
	v_fmac_f32_e32 v86, 0x3ed4b147, v20
	v_dual_add_f32 v20, v61, v119 :: v_dual_mul_f32 v89, 0x3f7d64f0, v34
	v_mul_f32_e32 v34, 0xbf4178ce, v34
	v_mul_f32_e32 v77, 0x3e903f40, v26
	;; [unrolled: 1-line block ×3, first 2 shown]
	v_fma_f32 v97, 0x3ed4b147, v32, -v49
	v_fma_f32 v107, 0xbf75a155, v32, -v65
	v_fmamk_f32 v111, v11, 0x3ed4b147, v73
	v_fmamk_f32 v113, v18, 0xbf27a4f4, v75
	v_fma_f32 v117, 0x3f575c64, v32, -v79
	v_fma_f32 v137, 0xbf27a4f4, v32, -v34
	v_dual_fmac_f32 v49, 0x3ed4b147, v32 :: v_dual_add_f32 v6, v61, v6
	v_fmac_f32_e32 v65, 0xbf75a155, v32
	v_fma_f32 v67, 0x3ed4b147, v11, -v73
	v_fma_f32 v73, 0xbf27a4f4, v18, -v75
	v_fmac_f32_e32 v79, 0x3f575c64, v32
	v_fma_f32 v75, 0xbf27a4f4, v9, -v82
	v_fmac_f32_e32 v34, 0xbf27a4f4, v32
	v_add_f32_e32 v20, v120, v20
	v_fma_f32 v127, 0xbe11bafb, v32, -v89
	v_dual_fmac_f32 v89, 0xbe11bafb, v32 :: v_dual_add_f32 v32, v60, v134
	v_fmamk_f32 v132, v14, 0xbf27a4f4, v13
	v_fma_f32 v9, 0xbf27a4f4, v14, -v13
	v_add_f32_e32 v13, v61, v99
	v_fma_f32 v82, 0xbe11bafb, v14, -v84
	v_add_f32_e32 v14, v60, v104
	;; [unrolled: 2-line block ×3, first 2 shown]
	v_add_f32_e32 v13, v100, v13
	v_mul_f32_e32 v87, 0xbf4178ce, v26
	v_mul_f32_e32 v26, 0xbf68dda4, v26
	v_dual_mul_f32 v30, 0xbf7d64f0, v30 :: v_dual_add_f32 v1, v61, v1
	v_fma_f32 v98, 0xbe11bafb, v39, -v50
	v_fma_f32 v105, 0xbe11bafb, v24, -v63
	s_delay_alu instid0(VALU_DEP_4)
	v_fma_f32 v135, 0x3ed4b147, v24, -v26
	v_dual_fmac_f32 v50, 0xbe11bafb, v39 :: v_dual_fmac_f32 v63, 0xbe11bafb, v24
	v_dual_fmac_f32 v26, 0x3ed4b147, v24 :: v_dual_add_f32 v1, v25, v1
	v_add_f32_e32 v0, v0, v2
	v_dual_add_f32 v2, v60, v46 :: v_dual_add_f32 v27, v61, v44
	v_add_f32_e32 v6, v7, v6
	v_dual_add_f32 v44, v61, v54 :: v_dual_mul_f32 v85, 0x3f0a6770, v15
	v_dual_mul_f32 v15, 0xbe903f40, v15 :: v_dual_add_f32 v46, v60, v76
	v_fma_f32 v125, 0xbf27a4f4, v24, -v87
	v_dual_fmac_f32 v87, 0xbf27a4f4, v24 :: v_dual_add_f32 v14, v105, v14
	v_add_f32_e32 v19, v115, v19
	v_fmac_f32_e32 v47, 0x3f575c64, v24
	v_add_f32_e32 v17, v17, v33
	v_dual_fmac_f32 v77, 0xbf75a155, v24 :: v_dual_add_f32 v22, v60, v22
	v_dual_add_f32 v24, v60, v124 :: v_dual_fmamk_f32 v121, v11, 0xbf75a155, v83
	v_fma_f32 v81, 0xbf75a155, v11, -v83
	v_add_f32_e32 v11, v60, v94
	v_fma_f32 v106, 0x3f575c64, v28, -v64
	v_fma_f32 v116, 0x3ed4b147, v28, -v78
	;; [unrolled: 1-line block ×3, first 2 shown]
	v_dual_fmamk_f32 v133, v18, 0xbf75a155, v15 :: v_dual_fmac_f32 v88, 0xbf75a155, v28
	v_fma_f32 v136, 0xbe11bafb, v28, -v30
	v_fmac_f32_e32 v78, 0x3ed4b147, v28
	v_dual_fmac_f32 v30, 0xbe11bafb, v28 :: v_dual_add_f32 v11, v95, v11
	v_fmac_f32_e32 v64, 0x3f575c64, v28
	v_dual_add_f32 v28, v61, v129 :: v_dual_fmamk_f32 v123, v18, 0x3f575c64, v85
	v_fma_f32 v83, 0x3f575c64, v18, -v85
	v_fma_f32 v18, 0xbf75a155, v18, -v15
	v_add_f32_e32 v15, v61, v109
	v_fma_f32 v118, 0xbf27a4f4, v39, -v80
	v_fma_f32 v128, 0x3f575c64, v39, -v90
	v_fmac_f32_e32 v90, 0x3f575c64, v39
	v_fma_f32 v138, 0xbf75a155, v39, -v40
	v_fmac_f32_e32 v80, 0xbf27a4f4, v39
	v_dual_fmac_f32 v40, 0xbf75a155, v39 :: v_dual_add_f32 v39, v60, v62
	v_add_f32_e32 v54, v61, v74
	v_add_f32_e32 v62, v60, v86
	v_dual_add_f32 v10, v37, v10 :: v_dual_add_f32 v15, v110, v15
	s_delay_alu instid0(VALU_DEP_3)
	v_dual_add_f32 v24, v125, v24 :: v_dual_add_f32 v37, v75, v54
	v_add_f32_e32 v28, v130, v28
	v_dual_add_f32 v32, v135, v32 :: v_dual_add_f32 v7, v26, v22
	v_dual_add_f32 v0, v0, v4 :: v_dual_add_f32 v13, v101, v13
	;; [unrolled: 1-line block ×3, first 2 shown]
	v_add_f32_e32 v25, v63, v39
	v_add_f32_e32 v39, v87, v62
	v_dual_add_f32 v10, v91, v10 :: v_dual_add_f32 v11, v96, v11
	v_dual_add_f32 v14, v106, v14 :: v_dual_add_f32 v15, v111, v15
	;; [unrolled: 1-line block ×5, first 2 shown]
	v_add_f32_e32 v26, v136, v32
	v_dual_add_f32 v0, v0, v5 :: v_dual_add_f32 v7, v30, v7
	v_add_f32_e32 v2, v47, v2
	v_dual_add_f32 v33, v77, v46 :: v_dual_add_f32 v4, v51, v4
	;; [unrolled: 2-line block ×3, first 2 shown]
	v_add_f32_e32 v32, v88, v39
	v_add_f32_e32 v6, v8, v6
	;; [unrolled: 1-line block ×3, first 2 shown]
	v_dual_add_f32 v10, v97, v11 :: v_dual_add_f32 v11, v102, v13
	v_dual_add_f32 v13, v107, v14 :: v_dual_add_f32 v14, v112, v15
	v_add_f32_e32 v17, v17, v29
	v_add_f32_e32 v15, v117, v19
	v_dual_add_f32 v19, v122, v20 :: v_dual_add_f32 v20, v127, v22
	v_dual_add_f32 v22, v132, v24 :: v_dual_add_f32 v35, v65, v5
	;; [unrolled: 1-line block ×5, first 2 shown]
	v_add_f32_e32 v29, v42, v1
	v_add_f32_e32 v33, v52, v4
	;; [unrolled: 1-line block ×3, first 2 shown]
	v_dual_add_f32 v34, v34, v7 :: v_dual_add_f32 v1, v93, v8
	v_dual_add_f32 v0, v98, v10 :: v_dual_add_f32 v7, v123, v19
	;; [unrolled: 1-line block ×3, first 2 shown]
	v_add_f32_e32 v20, v26, v12
	v_dual_add_f32 v30, v49, v2 :: v_dual_add_f32 v27, v79, v27
	v_dual_add_f32 v28, v82, v28 :: v_dual_add_f32 v3, v103, v11
	;; [unrolled: 1-line block ×9, first 2 shown]
	v_add_f32_e32 v19, v18, v37
	v_dual_add_f32 v16, v90, v32 :: v_dual_add_f32 v21, v21, v23
	v_add_f32_e32 v20, v20, v38
	v_add_f32_e32 v18, v40, v34
	ds_store_2addr_b64 v36, v[6:7], v[4:5] offset0:4 offset1:6
	ds_store_2addr_b64 v36, v[2:3], v[0:1] offset0:8 offset1:10
	;; [unrolled: 1-line block ×4, first 2 shown]
	ds_store_2addr_b64 v36, v[20:21], v[8:9] offset1:2
	ds_store_b64 v36, v[18:19] offset:160
.LBB0_20:
	s_wait_alu 0xfffe
	s_or_b32 exec_lo, exec_lo, s1
	v_lshrrev_b16 v0, 1, v56
	v_lshrrev_b16 v1, 1, v71
	global_wb scope:SCOPE_SE
	s_wait_dscnt 0x0
	s_barrier_signal -1
	s_barrier_wait -1
	v_and_b32_e32 v0, 0x7f, v0
	global_inv scope:SCOPE_SE
	v_mul_u32_u24_e32 v55, 6, v56
	v_mul_lo_u16 v0, 0xbb, v0
	s_delay_alu instid0(VALU_DEP_1) | instskip(SKIP_1) | instid1(VALU_DEP_2)
	v_lshrrev_b16 v41, 11, v0
	v_and_b32_e32 v0, 0x7f, v1
	v_mul_lo_u16 v1, v41, 22
	s_delay_alu instid0(VALU_DEP_2) | instskip(NEXT) | instid1(VALU_DEP_2)
	v_mul_lo_u16 v0, 0xbb, v0
	v_sub_nc_u16 v1, v56, v1
	s_delay_alu instid0(VALU_DEP_2) | instskip(NEXT) | instid1(VALU_DEP_2)
	v_lshrrev_b16 v42, 11, v0
	v_and_b32_e32 v53, 0xff, v1
	s_delay_alu instid0(VALU_DEP_2) | instskip(NEXT) | instid1(VALU_DEP_2)
	v_mul_lo_u16 v0, v42, 22
	v_mul_u32_u24_e32 v1, 6, v53
	s_delay_alu instid0(VALU_DEP_2) | instskip(NEXT) | instid1(VALU_DEP_2)
	v_sub_nc_u16 v0, v71, v0
	v_lshlrev_b32_e32 v1, 3, v1
	s_delay_alu instid0(VALU_DEP_2)
	v_and_b32_e32 v54, 0xff, v0
	s_clause 0x1
	global_load_b128 v[5:8], v1, s[4:5] offset:160
	global_load_b128 v[9:12], v1, s[4:5] offset:176
	v_mul_u32_u24_e32 v0, 6, v54
	v_add_nc_u32_e32 v2, 0x400, v57
	v_add_nc_u32_e32 v3, 0x800, v57
	s_delay_alu instid0(VALU_DEP_3)
	v_lshlrev_b32_e32 v0, 3, v0
	s_clause 0x3
	global_load_b128 v[13:16], v1, s[4:5] offset:192
	global_load_b128 v[17:20], v0, s[4:5] offset:160
	;; [unrolled: 1-line block ×4, first 2 shown]
	ds_load_2addr_b64 v[29:32], v57 offset0:77 offset1:154
	ds_load_2addr_b64 v[33:36], v2 offset0:103 offset1:180
	;; [unrolled: 1-line block ×3, first 2 shown]
	v_add_nc_u32_e32 v1, 0x1000, v57
	v_add_nc_u32_e32 v4, 0x1400, v57
	;; [unrolled: 1-line block ×3, first 2 shown]
	v_and_b32_e32 v60, 0xffff, v41
	v_and_b32_e32 v61, 0xffff, v42
	v_lshlrev_b32_e32 v64, 3, v53
	s_wait_loadcnt_dscnt 0x400
	v_mul_f32_e32 v66, v10, v40
	v_mul_f32_e32 v10, v10, v39
	v_mad_u32_u24 v63, 0x4d0, v61, 0
	s_delay_alu instid0(VALU_DEP_2)
	v_fmac_f32_e32 v10, v9, v40
	s_wait_loadcnt 0x2
	v_mul_f32_e32 v73, v38, v20
	ds_load_2addr_b64 v[41:44], v1 offset0:27 offset1:104
	ds_load_2addr_b64 v[45:48], v4 offset0:53 offset1:130
	;; [unrolled: 1-line block ×3, first 2 shown]
	v_lshlrev_b32_e32 v65, 3, v54
	v_lshlrev_b32_e32 v55, 3, v55
	s_wait_dscnt 0x2
	v_mul_f32_e32 v67, v12, v44
	s_wait_loadcnt_dscnt 0x101
	v_mul_f32_e32 v75, v46, v24
	v_mad_u32_u24 v62, 0x4d0, v60, 0
	ds_load_b64 v[53:54], v69
	ds_load_b64 v[60:61], v57 offset:8008
	v_mul_f32_e32 v12, v12, v43
	v_add3_u32 v63, v63, v65, v70
	v_mul_f32_e32 v65, v8, v36
	v_mul_f32_e32 v8, v8, v35
	s_wait_dscnt 0x2
	v_mul_f32_e32 v71, v52, v16
	v_fmac_f32_e32 v12, v11, v44
	global_wb scope:SCOPE_SE
	s_wait_loadcnt_dscnt 0x0
	s_barrier_signal -1
	v_fmac_f32_e32 v8, v7, v36
	s_barrier_wait -1
	global_inv scope:SCOPE_SE
	v_mul_f32_e32 v77, v61, v28
	v_add3_u32 v62, v62, v64, v70
	v_mul_f32_e32 v64, v6, v32
	v_mul_f32_e32 v6, v6, v31
	;; [unrolled: 1-line block ×3, first 2 shown]
	s_delay_alu instid0(VALU_DEP_3) | instskip(NEXT) | instid1(VALU_DEP_3)
	v_fma_f32 v31, v5, v31, -v64
	v_fmac_f32_e32 v6, v5, v32
	v_fma_f32 v5, v7, v35, -v65
	v_fma_f32 v7, v9, v39, -v66
	;; [unrolled: 1-line block ×3, first 2 shown]
	v_mul_f32_e32 v16, v51, v16
	v_mul_f32_e32 v72, v34, v18
	v_fma_f32 v11, v47, v13, -v70
	v_mul_f32_e32 v14, v47, v14
	s_delay_alu instid0(VALU_DEP_4) | instskip(NEXT) | instid1(VALU_DEP_1)
	v_fmac_f32_e32 v16, v52, v15
	v_add_f32_e32 v32, v6, v16
	v_sub_f32_e32 v6, v6, v16
	v_add_f32_e32 v16, v5, v11
	v_dual_sub_f32 v5, v5, v11 :: v_dual_fmac_f32 v14, v48, v13
	v_fma_f32 v13, v51, v15, -v71
	v_add_f32_e32 v11, v7, v9
	v_fma_f32 v15, v33, v17, -v72
	v_mul_f32_e32 v18, v33, v18
	v_sub_f32_e32 v7, v9, v7
	v_mul_f32_e32 v24, v45, v24
	s_delay_alu instid0(VALU_DEP_3) | instskip(SKIP_1) | instid1(VALU_DEP_4)
	v_fmac_f32_e32 v18, v34, v17
	v_fma_f32 v17, v37, v19, -v73
	v_dual_mul_f32 v74, v42, v22 :: v_dual_add_f32 v35, v7, v5
	v_dual_mul_f32 v20, v37, v20 :: v_dual_sub_f32 v9, v12, v10
	v_mul_f32_e32 v76, v50, v26
	v_mul_f32_e32 v26, v49, v26
	v_fmac_f32_e32 v24, v46, v23
	s_delay_alu instid0(VALU_DEP_4) | instskip(SKIP_4) | instid1(VALU_DEP_3)
	v_fmac_f32_e32 v20, v38, v19
	v_fma_f32 v19, v41, v21, -v74
	v_mul_f32_e32 v22, v41, v22
	v_fmac_f32_e32 v26, v50, v25
	v_sub_f32_e32 v37, v7, v5
	v_fmac_f32_e32 v22, v42, v21
	v_fma_f32 v21, v45, v23, -v75
	v_mul_f32_e32 v28, v60, v28
	v_fma_f32 v23, v49, v25, -v76
	v_fma_f32 v25, v60, v27, -v77
	s_delay_alu instid0(VALU_DEP_3) | instskip(SKIP_2) | instid1(VALU_DEP_2)
	v_dual_fmac_f32 v28, v61, v27 :: v_dual_add_f32 v27, v31, v13
	v_sub_f32_e32 v13, v31, v13
	v_add_f32_e32 v31, v8, v14
	v_dual_sub_f32 v8, v8, v14 :: v_dual_sub_f32 v7, v13, v7
	v_add_f32_e32 v14, v10, v12
	v_add_f32_e32 v10, v15, v25
	v_sub_f32_e32 v15, v15, v25
	v_add_f32_e32 v25, v17, v23
	v_sub_f32_e32 v17, v17, v23
	;; [unrolled: 2-line block ×3, first 2 shown]
	v_sub_f32_e32 v39, v5, v13
	v_add_f32_e32 v5, v25, v10
	v_sub_f32_e32 v41, v25, v10
	v_sub_f32_e32 v25, v23, v25
	v_add_f32_e32 v43, v19, v17
	v_sub_f32_e32 v45, v19, v17
	v_sub_f32_e32 v19, v15, v19
	;; [unrolled: 1-line block ×4, first 2 shown]
	v_dual_add_f32 v13, v35, v13 :: v_dual_add_f32 v36, v9, v8
	v_dual_sub_f32 v38, v9, v8 :: v_dual_sub_f32 v9, v6, v9
	v_add_f32_e32 v12, v18, v28
	v_sub_f32_e32 v18, v18, v28
	v_sub_f32_e32 v8, v8, v6
	v_add_f32_e32 v28, v20, v26
	v_sub_f32_e32 v20, v20, v26
	v_dual_add_f32 v26, v22, v24 :: v_dual_add_f32 v15, v43, v15
	v_sub_f32_e32 v34, v31, v32
	s_delay_alu instid0(VALU_DEP_3)
	v_add_f32_e32 v44, v21, v20
	v_dual_sub_f32 v46, v21, v20 :: v_dual_sub_f32 v21, v18, v21
	v_add_f32_e32 v22, v16, v27
	v_dual_add_f32 v24, v31, v32 :: v_dual_sub_f32 v33, v16, v27
	v_sub_f32_e32 v27, v27, v11
	v_sub_f32_e32 v16, v11, v16
	s_delay_alu instid0(VALU_DEP_4) | instskip(SKIP_2) | instid1(VALU_DEP_2)
	v_add_f32_e32 v11, v11, v22
	v_dual_sub_f32 v32, v32, v14 :: v_dual_sub_f32 v31, v14, v31
	v_add_f32_e32 v14, v14, v24
	v_dual_mul_f32 v24, 0x3f4a47b2, v27 :: v_dual_mul_f32 v27, 0x3f4a47b2, v32
	s_delay_alu instid0(VALU_DEP_3) | instskip(NEXT) | instid1(VALU_DEP_2)
	v_dual_mul_f32 v32, 0x3d64c772, v16 :: v_dual_mul_f32 v35, 0x3d64c772, v31
	v_fmamk_f32 v16, v16, 0x3d64c772, v24
	v_fma_f32 v24, 0xbf3bfb3b, v33, -v24
	s_delay_alu instid0(VALU_DEP_4) | instskip(NEXT) | instid1(VALU_DEP_4)
	v_dual_fmamk_f32 v31, v31, 0x3d64c772, v27 :: v_dual_add_f32 v22, v36, v6
	v_fma_f32 v32, 0x3f3bfb3b, v33, -v32
	v_mul_f32_e32 v36, 0xbf08b237, v37
	v_fma_f32 v35, 0x3f3bfb3b, v34, -v35
	v_fma_f32 v27, 0xbf3bfb3b, v34, -v27
	s_delay_alu instid0(VALU_DEP_3) | instskip(SKIP_3) | instid1(VALU_DEP_4)
	v_dual_fmamk_f32 v33, v7, 0x3eae86e6, v36 :: v_dual_sub_f32 v10, v10, v23
	v_mul_f32_e32 v37, 0xbf08b237, v38
	v_dual_mul_f32 v38, 0x3f5ff5aa, v39 :: v_dual_add_f32 v23, v23, v5
	v_fma_f32 v36, 0x3f5ff5aa, v39, -v36
	v_fmac_f32_e32 v33, 0x3ee1c552, v13
	v_mul_f32_e32 v10, 0x3f4a47b2, v10
	s_delay_alu instid0(VALU_DEP_4) | instskip(SKIP_4) | instid1(VALU_DEP_3)
	v_fma_f32 v38, 0xbeae86e6, v7, -v38
	v_add_f32_e32 v7, v23, v29
	v_dual_mul_f32 v47, 0x3f5ff5aa, v8 :: v_dual_sub_f32 v20, v20, v18
	v_dual_add_f32 v5, v11, v53 :: v_dual_sub_f32 v42, v28, v12
	v_fmamk_f32 v34, v9, 0x3eae86e6, v37
	v_fma_f32 v39, 0xbeae86e6, v9, -v47
	v_fma_f32 v37, 0x3f5ff5aa, v8, -v37
	v_fmamk_f32 v9, v25, 0x3d64c772, v10
	v_fma_f32 v10, 0xbf3bfb3b, v41, -v10
	s_delay_alu instid0(VALU_DEP_4)
	v_dual_fmac_f32 v36, 0x3ee1c552, v13 :: v_dual_fmac_f32 v39, 0x3ee1c552, v22
	v_add_f32_e32 v18, v44, v18
	v_dual_mul_f32 v44, 0xbf08b237, v45 :: v_dual_mul_f32 v45, 0xbf08b237, v46
	v_add_f32_e32 v40, v28, v12
	v_sub_f32_e32 v12, v12, v26
	v_dual_sub_f32 v28, v26, v28 :: v_dual_fmac_f32 v37, 0x3ee1c552, v22
	v_mul_f32_e32 v46, 0x3f5ff5aa, v17
	s_delay_alu instid0(VALU_DEP_4) | instskip(NEXT) | instid1(VALU_DEP_3)
	v_add_f32_e32 v26, v26, v40
	v_dual_mul_f32 v40, 0x3d64c772, v25 :: v_dual_mul_f32 v43, 0x3d64c772, v28
	v_fmac_f32_e32 v38, 0x3ee1c552, v13
	v_fmamk_f32 v13, v23, 0xbf955555, v7
	v_mul_f32_e32 v12, 0x3f4a47b2, v12
	v_add_f32_e32 v8, v26, v30
	v_fma_f32 v30, 0x3f5ff5aa, v17, -v44
	v_fmamk_f32 v11, v11, 0xbf955555, v5
	v_fma_f32 v29, 0x3f3bfb3b, v42, -v43
	v_fmamk_f32 v25, v28, 0x3d64c772, v12
	v_fma_f32 v28, 0x3f3bfb3b, v41, -v40
	v_dual_fmamk_f32 v40, v19, 0x3eae86e6, v44 :: v_dual_fmamk_f32 v41, v21, 0x3eae86e6, v45
	v_fma_f32 v43, 0xbeae86e6, v19, -v46
	v_fmac_f32_e32 v30, 0x3ee1c552, v15
	v_fma_f32 v12, 0xbf3bfb3b, v42, -v12
	s_delay_alu instid0(VALU_DEP_4) | instskip(NEXT) | instid1(VALU_DEP_4)
	v_dual_fmac_f32 v40, 0x3ee1c552, v15 :: v_dual_fmac_f32 v41, 0x3ee1c552, v18
	v_dual_add_f32 v6, v14, v54 :: v_dual_fmac_f32 v43, 0x3ee1c552, v15
	v_dual_add_f32 v15, v32, v11 :: v_dual_mul_f32 v48, 0x3f5ff5aa, v20
	v_fma_f32 v42, 0x3f5ff5aa, v20, -v45
	s_delay_alu instid0(VALU_DEP_3) | instskip(SKIP_1) | instid1(VALU_DEP_4)
	v_fmamk_f32 v14, v14, 0xbf955555, v6
	v_fmamk_f32 v17, v26, 0xbf955555, v8
	v_fma_f32 v44, 0xbeae86e6, v21, -v48
	s_delay_alu instid0(VALU_DEP_3) | instskip(SKIP_1) | instid1(VALU_DEP_4)
	v_add_f32_e32 v21, v27, v14
	v_add_f32_e32 v27, v28, v13
	;; [unrolled: 1-line block ×3, first 2 shown]
	v_dual_add_f32 v29, v10, v13 :: v_dual_fmac_f32 v42, 0x3ee1c552, v18
	v_fmac_f32_e32 v44, 0x3ee1c552, v18
	v_dual_add_f32 v20, v31, v14 :: v_dual_add_f32 v31, v9, v13
	s_delay_alu instid0(VALU_DEP_3) | instskip(SKIP_1) | instid1(VALU_DEP_4)
	v_dual_add_f32 v32, v25, v17 :: v_dual_sub_f32 v25, v27, v42
	v_add_f32_e32 v19, v16, v11
	v_dual_add_f32 v23, v44, v29 :: v_dual_fmac_f32 v34, 0x3ee1c552, v22
	v_add_f32_e32 v16, v35, v14
	v_add_f32_e32 v18, v24, v11
	;; [unrolled: 1-line block ×3, first 2 shown]
	s_delay_alu instid0(VALU_DEP_4) | instskip(SKIP_1) | instid1(VALU_DEP_4)
	v_dual_sub_f32 v10, v20, v33 :: v_dual_add_f32 v9, v34, v19
	v_sub_f32_e32 v12, v21, v38
	v_add_f32_e32 v11, v39, v18
	v_dual_sub_f32 v13, v15, v37 :: v_dual_add_f32 v14, v36, v16
	v_dual_add_f32 v15, v37, v15 :: v_dual_sub_f32 v16, v16, v36
	v_sub_f32_e32 v17, v18, v39
	v_dual_add_f32 v18, v38, v21 :: v_dual_sub_f32 v19, v19, v34
	v_add_f32_e32 v20, v33, v20
	v_dual_add_f32 v21, v41, v31 :: v_dual_sub_f32 v22, v32, v40
	v_sub_f32_e32 v24, v35, v43
	v_add_f32_e32 v26, v30, v28
	v_dual_add_f32 v27, v42, v27 :: v_dual_sub_f32 v28, v28, v30
	v_dual_sub_f32 v29, v29, v44 :: v_dual_add_f32 v30, v43, v35
	v_dual_sub_f32 v31, v31, v41 :: v_dual_add_f32 v32, v40, v32
	ds_store_2addr_b64 v62, v[5:6], v[9:10] offset1:22
	ds_store_2addr_b64 v62, v[11:12], v[13:14] offset0:44 offset1:66
	ds_store_2addr_b64 v62, v[15:16], v[17:18] offset0:88 offset1:110
	ds_store_b64 v62, v[19:20] offset:1056
	ds_store_2addr_b64 v63, v[7:8], v[21:22] offset1:22
	ds_store_2addr_b64 v63, v[23:24], v[25:26] offset0:44 offset1:66
	ds_store_2addr_b64 v63, v[27:28], v[29:30] offset0:88 offset1:110
	ds_store_b64 v63, v[31:32] offset:1056
	global_wb scope:SCOPE_SE
	s_wait_dscnt 0x0
	s_barrier_signal -1
	s_barrier_wait -1
	global_inv scope:SCOPE_SE
	s_clause 0x5
	global_load_b128 v[5:8], v55, s[4:5] offset:1216
	global_load_b128 v[9:12], v55, s[4:5] offset:1232
	;; [unrolled: 1-line block ×6, first 2 shown]
	ds_load_2addr_b64 v[29:32], v57 offset0:77 offset1:154
	ds_load_2addr_b64 v[33:36], v2 offset0:103 offset1:180
	;; [unrolled: 1-line block ×6, first 2 shown]
	ds_load_b64 v[3:4], v69
	ds_load_b64 v[53:54], v57 offset:8008
	global_wb scope:SCOPE_SE
	s_wait_loadcnt_dscnt 0x0
	s_barrier_signal -1
	s_barrier_wait -1
	global_inv scope:SCOPE_SE
	v_add_nc_u32_e32 v55, 0xc00, v57
	v_mul_f32_e32 v61, v6, v32
	v_mul_f32_e32 v6, v6, v31
	;; [unrolled: 1-line block ×3, first 2 shown]
	v_dual_mul_f32 v8, v8, v35 :: v_dual_mul_f32 v63, v10, v40
	v_mul_f32_e32 v10, v10, v39
	v_mul_f32_e32 v64, v12, v44
	v_dual_mul_f32 v12, v12, v43 :: v_dual_mul_f32 v65, v14, v48
	v_mul_f32_e32 v66, v52, v16
	v_mul_f32_e32 v16, v51, v16
	v_fma_f32 v31, v5, v31, -v61
	v_fmac_f32_e32 v6, v5, v32
	v_fma_f32 v5, v7, v35, -v62
	v_fmac_f32_e32 v8, v7, v36
	;; [unrolled: 2-line block ×5, first 2 shown]
	v_mul_f32_e32 v14, v14, v47
	v_mul_f32_e32 v67, v34, v18
	v_dual_mul_f32 v18, v33, v18 :: v_dual_mul_f32 v69, v38, v20
	s_delay_alu instid0(VALU_DEP_4)
	v_add_f32_e32 v32, v6, v16
	v_sub_f32_e32 v6, v6, v16
	v_add_f32_e32 v16, v5, v11
	v_sub_f32_e32 v5, v5, v11
	v_add_f32_e32 v11, v7, v9
	v_sub_f32_e32 v7, v9, v7
	v_mul_f32_e32 v20, v37, v20
	v_mul_f32_e32 v72, v50, v26
	;; [unrolled: 1-line block ×4, first 2 shown]
	v_fmac_f32_e32 v14, v13, v48
	v_fma_f32 v13, v51, v15, -v66
	v_fma_f32 v15, v33, v17, -v67
	v_fmac_f32_e32 v18, v34, v17
	v_fma_f32 v17, v37, v19, -v69
	v_dual_sub_f32 v37, v7, v5 :: v_dual_mul_f32 v26, v49, v26
	v_mul_f32_e32 v70, v42, v22
	v_mul_f32_e32 v71, v46, v24
	;; [unrolled: 1-line block ×3, first 2 shown]
	v_fmac_f32_e32 v20, v38, v19
	v_fmac_f32_e32 v26, v50, v25
	v_dual_fmac_f32 v28, v54, v27 :: v_dual_add_f32 v35, v7, v5
	v_mul_f32_e32 v22, v41, v22
	v_fma_f32 v19, v41, v21, -v70
	v_dual_fmac_f32 v24, v46, v23 :: v_dual_sub_f32 v9, v12, v10
	s_delay_alu instid0(VALU_DEP_3)
	v_fmac_f32_e32 v22, v42, v21
	v_fma_f32 v21, v45, v23, -v71
	v_fma_f32 v23, v49, v25, -v72
	;; [unrolled: 1-line block ×3, first 2 shown]
	v_add_f32_e32 v27, v31, v13
	v_sub_f32_e32 v13, v31, v13
	v_add_f32_e32 v31, v8, v14
	v_sub_f32_e32 v8, v8, v14
	v_add_f32_e32 v14, v10, v12
	v_add_f32_e32 v12, v18, v28
	v_sub_f32_e32 v18, v18, v28
	v_add_f32_e32 v28, v20, v26
	v_sub_f32_e32 v20, v20, v26
	v_add_f32_e32 v26, v22, v24
	v_dual_sub_f32 v34, v31, v32 :: v_dual_sub_f32 v5, v5, v13
	s_delay_alu instid0(VALU_DEP_4) | instskip(SKIP_1) | instid1(VALU_DEP_4)
	v_add_f32_e32 v40, v28, v12
	v_sub_f32_e32 v42, v28, v12
	v_sub_f32_e32 v12, v12, v26
	v_dual_sub_f32 v28, v26, v28 :: v_dual_sub_f32 v7, v13, v7
	s_delay_alu instid0(VALU_DEP_4)
	v_add_f32_e32 v26, v26, v40
	v_add_f32_e32 v10, v15, v25
	v_sub_f32_e32 v15, v15, v25
	v_add_f32_e32 v25, v17, v23
	v_sub_f32_e32 v17, v17, v23
	v_add_f32_e32 v23, v19, v21
	v_sub_f32_e32 v19, v21, v19
	v_dual_sub_f32 v21, v24, v22 :: v_dual_add_f32 v24, v31, v32
	v_dual_sub_f32 v32, v32, v14 :: v_dual_sub_f32 v31, v14, v31
	v_add_f32_e32 v39, v25, v10
	v_dual_sub_f32 v41, v25, v10 :: v_dual_sub_f32 v10, v10, v23
	s_delay_alu instid0(VALU_DEP_4) | instskip(NEXT) | instid1(VALU_DEP_4)
	v_dual_sub_f32 v25, v23, v25 :: v_dual_add_f32 v14, v14, v24
	v_dual_add_f32 v13, v35, v13 :: v_dual_mul_f32 v24, 0x3f4a47b2, v32
	v_mul_f32_e32 v32, 0x3d64c772, v31
	v_mul_f32_e32 v35, 0xbf08b237, v37
	;; [unrolled: 1-line block ×3, first 2 shown]
	v_dual_add_f32 v23, v23, v39 :: v_dual_mul_f32 v10, 0x3f4a47b2, v10
	v_fmamk_f32 v31, v31, 0x3d64c772, v24
	v_fma_f32 v32, 0x3f3bfb3b, v34, -v32
	v_fma_f32 v24, 0xbf3bfb3b, v34, -v24
	v_fmamk_f32 v34, v7, 0x3eae86e6, v35
	v_fma_f32 v35, 0x3f5ff5aa, v5, -v35
	v_fma_f32 v37, 0xbeae86e6, v7, -v37
	v_add_f32_e32 v5, v23, v29
	v_fmamk_f32 v7, v25, 0x3d64c772, v10
	v_add_f32_e32 v36, v9, v8
	v_sub_f32_e32 v38, v9, v8
	v_fma_f32 v10, 0xbf3bfb3b, v41, -v10
	v_fmac_f32_e32 v34, 0x3ee1c552, v13
	v_fmac_f32_e32 v35, 0x3ee1c552, v13
	;; [unrolled: 1-line block ×3, first 2 shown]
	v_dual_fmamk_f32 v13, v23, 0xbf955555, v5 :: v_dual_add_f32 v22, v16, v27
	v_dual_sub_f32 v33, v16, v27 :: v_dual_add_nc_u32 v60, 0x600, v57
	v_sub_f32_e32 v27, v27, v11
	v_dual_sub_f32 v16, v11, v16 :: v_dual_sub_f32 v9, v6, v9
	s_delay_alu instid0(VALU_DEP_4)
	v_add_f32_e32 v23, v10, v13
	v_add_f32_e32 v11, v11, v22
	;; [unrolled: 1-line block ×3, first 2 shown]
	v_dual_mul_f32 v36, 0xbf08b237, v38 :: v_dual_add_f32 v43, v19, v17
	v_sub_f32_e32 v45, v19, v17
	v_sub_f32_e32 v17, v17, v15
	;; [unrolled: 1-line block ×3, first 2 shown]
	s_delay_alu instid0(VALU_DEP_4)
	v_dual_fmamk_f32 v47, v9, 0x3eae86e6, v36 :: v_dual_sub_f32 v8, v8, v6
	v_mul_f32_e32 v6, 0x3f4a47b2, v27
	v_mul_f32_e32 v27, 0x3d64c772, v16
	v_dual_add_f32 v15, v43, v15 :: v_dual_mul_f32 v12, 0x3f4a47b2, v12
	v_mul_f32_e32 v40, 0x3d64c772, v28
	v_mul_f32_e32 v43, 0xbf08b237, v45
	;; [unrolled: 1-line block ×3, first 2 shown]
	v_dual_add_f32 v3, v11, v3 :: v_dual_fmamk_f32 v16, v16, 0x3d64c772, v6
	v_fma_f32 v27, 0x3f3bfb3b, v33, -v27
	v_fma_f32 v33, 0xbf3bfb3b, v33, -v6
	v_add_f32_e32 v6, v26, v30
	v_add_f32_e32 v44, v21, v20
	v_mul_f32_e32 v38, 0x3f5ff5aa, v8
	v_mul_f32_e32 v39, 0x3d64c772, v25
	v_fma_f32 v36, 0x3f5ff5aa, v8, -v36
	v_fmamk_f32 v8, v28, 0x3d64c772, v12
	v_fma_f32 v25, 0x3f3bfb3b, v42, -v40
	v_fmamk_f32 v28, v19, 0x3eae86e6, v43
	v_fma_f32 v30, 0x3f5ff5aa, v17, -v43
	v_fma_f32 v40, 0xbeae86e6, v19, -v45
	v_fmamk_f32 v11, v11, 0xbf955555, v3
	v_dual_fmamk_f32 v17, v26, 0xbf955555, v6 :: v_dual_add_f32 v26, v7, v13
	v_sub_f32_e32 v46, v21, v20
	v_fmac_f32_e32 v28, 0x3ee1c552, v15
	v_fmac_f32_e32 v30, 0x3ee1c552, v15
	;; [unrolled: 1-line block ×3, first 2 shown]
	v_add_f32_e32 v15, v16, v11
	v_dual_sub_f32 v21, v18, v21 :: v_dual_sub_f32 v20, v20, v18
	v_add_f32_e32 v18, v44, v18
	v_mul_f32_e32 v44, 0xbf08b237, v46
	v_add_f32_e32 v4, v14, v4
	v_fma_f32 v38, 0xbeae86e6, v9, -v38
	v_mul_f32_e32 v46, 0x3f5ff5aa, v20
	v_fma_f32 v9, 0x3f3bfb3b, v41, -v39
	v_fmamk_f32 v29, v21, 0x3eae86e6, v44
	v_fmac_f32_e32 v47, 0x3ee1c552, v22
	v_fma_f32 v39, 0x3f5ff5aa, v20, -v44
	v_fma_f32 v41, 0xbeae86e6, v21, -v46
	v_fmamk_f32 v14, v14, 0xbf955555, v4
	v_fmac_f32_e32 v29, 0x3ee1c552, v18
	ds_store_2addr_b64 v57, v[3:4], v[5:6] offset1:77
	v_add_f32_e32 v21, v9, v13
	v_add_f32_e32 v3, v47, v15
	v_sub_f32_e32 v13, v15, v47
	v_add_f32_e32 v15, v29, v26
	v_fma_f32 v12, 0xbf3bfb3b, v42, -v12
	v_fmac_f32_e32 v38, 0x3ee1c552, v22
	v_fmac_f32_e32 v39, 0x3ee1c552, v18
	;; [unrolled: 1-line block ×3, first 2 shown]
	v_add_f32_e32 v16, v31, v14
	v_dual_add_f32 v18, v27, v11 :: v_dual_add_f32 v19, v32, v14
	v_dual_add_f32 v11, v33, v11 :: v_dual_add_f32 v14, v24, v14
	v_dual_fmac_f32 v36, 0x3ee1c552, v22 :: v_dual_add_f32 v27, v8, v17
	v_add_f32_e32 v24, v12, v17
	v_add_f32_e32 v22, v25, v17
	v_dual_sub_f32 v25, v26, v29 :: v_dual_sub_f32 v4, v16, v34
	v_add_f32_e32 v5, v38, v11
	v_sub_f32_e32 v6, v14, v37
	v_dual_sub_f32 v7, v18, v36 :: v_dual_add_f32 v8, v35, v19
	v_dual_add_f32 v9, v36, v18 :: v_dual_sub_f32 v10, v19, v35
	v_sub_f32_e32 v11, v11, v38
	v_add_f32_e32 v12, v37, v14
	v_add_f32_e32 v14, v34, v16
	v_dual_sub_f32 v16, v27, v28 :: v_dual_add_f32 v17, v41, v23
	v_dual_sub_f32 v18, v24, v40 :: v_dual_sub_f32 v19, v21, v39
	v_dual_add_f32 v20, v30, v22 :: v_dual_add_f32 v21, v39, v21
	v_dual_sub_f32 v22, v22, v30 :: v_dual_sub_f32 v23, v23, v41
	v_add_f32_e32 v24, v40, v24
	v_add_f32_e32 v26, v28, v27
	ds_store_2addr_b64 v2, v[3:4], v[5:6] offset0:26 offset1:180
	ds_store_2addr_b64 v55, v[7:8], v[9:10] offset0:78 offset1:232
	;; [unrolled: 1-line block ×6, first 2 shown]
	global_wb scope:SCOPE_SE
	s_wait_dscnt 0x0
	s_barrier_signal -1
	s_barrier_wait -1
	global_inv scope:SCOPE_SE
	s_and_saveexec_b32 s0, vcc_lo
	s_cbranch_execz .LBB0_22
; %bb.21:
	v_dual_mov_b32 v57, 0 :: v_dual_add_nc_u32 v6, 0x4d, v56
	v_lshl_add_u32 v18, v56, 3, v68
	v_add_co_u32 v24, vcc_lo, s8, v58
	s_delay_alu instid0(VALU_DEP_3)
	v_lshlrev_b64_e32 v[4:5], 3, v[56:57]
	s_wait_alu 0xfffd
	v_add_co_ci_u32_e32 v25, vcc_lo, s9, v59, vcc_lo
	v_dual_mov_b32 v7, v57 :: v_dual_add_nc_u32 v8, 0x9a, v56
	ds_load_2addr_b64 v[0:3], v18 offset1:77
	v_add_co_u32 v10, vcc_lo, v24, v4
	v_dual_mov_b32 v9, v57 :: v_dual_add_nc_u32 v14, 0xe7, v56
	s_wait_alu 0xfffd
	v_add_co_ci_u32_e32 v11, vcc_lo, v25, v5, vcc_lo
	v_lshlrev_b64_e32 v[12:13], 3, v[6:7]
	ds_load_2addr_b64 v[4:7], v18 offset0:154 offset1:231
	v_dual_mov_b32 v15, v57 :: v_dual_add_nc_u32 v16, 0x134, v56
	v_lshlrev_b64_e32 v[8:9], 3, v[8:9]
	v_mov_b32_e32 v17, v57
	v_add_co_u32 v12, vcc_lo, v24, v12
	s_delay_alu instid0(VALU_DEP_4)
	v_lshlrev_b64_e32 v[14:15], 3, v[14:15]
	s_wait_alu 0xfffd
	v_add_co_ci_u32_e32 v13, vcc_lo, v25, v13, vcc_lo
	v_add_co_u32 v8, vcc_lo, v24, v8
	s_wait_alu 0xfffd
	v_add_co_ci_u32_e32 v9, vcc_lo, v25, v9, vcc_lo
	v_add_co_u32 v14, vcc_lo, v24, v14
	s_wait_alu 0xfffd
	v_add_co_ci_u32_e32 v15, vcc_lo, v25, v15, vcc_lo
	s_wait_dscnt 0x1
	s_clause 0x1
	global_store_b64 v[10:11], v[0:1], off
	global_store_b64 v[12:13], v[2:3], off
	s_wait_dscnt 0x0
	s_clause 0x1
	global_store_b64 v[8:9], v[4:5], off
	global_store_b64 v[14:15], v[6:7], off
	v_add_nc_u32_e32 v6, 0x181, v56
	v_lshlrev_b64_e32 v[4:5], 3, v[16:17]
	v_add_nc_u32_e32 v19, 0x800, v18
	v_dual_mov_b32 v7, v57 :: v_dual_add_nc_u32 v8, 0x1ce, v56
	v_dual_mov_b32 v9, v57 :: v_dual_add_nc_u32 v14, 0xc00, v18
	ds_load_2addr_b64 v[0:3], v19 offset0:52 offset1:129
	v_add_co_u32 v10, vcc_lo, v24, v4
	s_wait_alu 0xfffd
	v_add_co_ci_u32_e32 v11, vcc_lo, v25, v5, vcc_lo
	v_lshlrev_b64_e32 v[12:13], 3, v[6:7]
	ds_load_2addr_b64 v[4:7], v14 offset0:78 offset1:155
	v_dual_mov_b32 v15, v57 :: v_dual_add_nc_u32 v14, 0x21b, v56
	v_lshlrev_b64_e32 v[8:9], 3, v[8:9]
	v_add_nc_u32_e32 v16, 0x268, v56
	v_add_co_u32 v12, vcc_lo, v24, v12
	s_delay_alu instid0(VALU_DEP_4)
	v_lshlrev_b64_e32 v[14:15], 3, v[14:15]
	s_wait_alu 0xfffd
	v_add_co_ci_u32_e32 v13, vcc_lo, v25, v13, vcc_lo
	v_add_co_u32 v8, vcc_lo, v24, v8
	s_wait_alu 0xfffd
	v_add_co_ci_u32_e32 v9, vcc_lo, v25, v9, vcc_lo
	v_add_co_u32 v14, vcc_lo, v24, v14
	s_wait_alu 0xfffd
	v_add_co_ci_u32_e32 v15, vcc_lo, v25, v15, vcc_lo
	s_wait_dscnt 0x1
	s_clause 0x1
	global_store_b64 v[10:11], v[0:1], off
	global_store_b64 v[12:13], v[2:3], off
	s_wait_dscnt 0x0
	s_clause 0x1
	global_store_b64 v[8:9], v[4:5], off
	global_store_b64 v[14:15], v[6:7], off
	v_dual_mov_b32 v5, v57 :: v_dual_add_nc_u32 v4, 0x2b5, v56
	v_mov_b32_e32 v7, v57
	v_lshlrev_b64_e32 v[16:17], 3, v[16:17]
	v_dual_mov_b32 v9, v57 :: v_dual_add_nc_u32 v6, 0x302, v56
	s_delay_alu instid0(VALU_DEP_4)
	v_lshlrev_b64_e32 v[4:5], 3, v[4:5]
	v_add_nc_u32_e32 v19, 0x1000, v18
	v_add_nc_u32_e32 v22, 0x1800, v18
	v_add_co_u32 v12, vcc_lo, v24, v16
	v_lshlrev_b64_e32 v[10:11], 3, v[6:7]
	s_wait_alu 0xfffd
	v_add_co_ci_u32_e32 v13, vcc_lo, v25, v17, vcc_lo
	v_add_nc_u32_e32 v8, 0x34f, v56
	v_add_co_u32 v14, vcc_lo, v24, v4
	ds_load_2addr_b64 v[0:3], v19 offset0:104 offset1:181
	v_mov_b32_e32 v19, v57
	s_wait_alu 0xfffd
	v_add_co_ci_u32_e32 v15, vcc_lo, v25, v5, vcc_lo
	ds_load_2addr_b64 v[4:7], v22 offset0:2 offset1:79
	v_add_co_u32 v20, vcc_lo, v24, v10
	v_lshlrev_b64_e32 v[16:17], 3, v[8:9]
	v_add_nc_u32_e32 v18, 0x39c, v56
	s_wait_alu 0xfffd
	v_add_co_ci_u32_e32 v21, vcc_lo, v25, v11, vcc_lo
	ds_load_2addr_b64 v[8:11], v22 offset0:156 offset1:233
	v_add_nc_u32_e32 v56, 0x3e9, v56
	v_lshlrev_b64_e32 v[18:19], 3, v[18:19]
	v_add_co_u32 v16, vcc_lo, v24, v16
	s_wait_alu 0xfffd
	v_add_co_ci_u32_e32 v17, vcc_lo, v25, v17, vcc_lo
	v_lshlrev_b64_e32 v[22:23], 3, v[56:57]
	s_delay_alu instid0(VALU_DEP_4) | instskip(SKIP_2) | instid1(VALU_DEP_3)
	v_add_co_u32 v18, vcc_lo, v24, v18
	s_wait_alu 0xfffd
	v_add_co_ci_u32_e32 v19, vcc_lo, v25, v19, vcc_lo
	v_add_co_u32 v22, vcc_lo, v24, v22
	s_wait_alu 0xfffd
	v_add_co_ci_u32_e32 v23, vcc_lo, v25, v23, vcc_lo
	s_wait_dscnt 0x2
	s_clause 0x1
	global_store_b64 v[12:13], v[0:1], off
	global_store_b64 v[14:15], v[2:3], off
	s_wait_dscnt 0x1
	s_clause 0x1
	global_store_b64 v[20:21], v[4:5], off
	global_store_b64 v[16:17], v[6:7], off
	;; [unrolled: 4-line block ×3, first 2 shown]
.LBB0_22:
	s_nop 0
	s_sendmsg sendmsg(MSG_DEALLOC_VGPRS)
	s_endpgm
	.section	.rodata,"a",@progbits
	.p2align	6, 0x0
	.amdhsa_kernel fft_rtc_fwd_len1078_factors_2_11_7_7_wgs_231_tpt_77_halfLds_sp_ip_CI_unitstride_sbrr_C2R_dirReg
		.amdhsa_group_segment_fixed_size 0
		.amdhsa_private_segment_fixed_size 0
		.amdhsa_kernarg_size 88
		.amdhsa_user_sgpr_count 2
		.amdhsa_user_sgpr_dispatch_ptr 0
		.amdhsa_user_sgpr_queue_ptr 0
		.amdhsa_user_sgpr_kernarg_segment_ptr 1
		.amdhsa_user_sgpr_dispatch_id 0
		.amdhsa_user_sgpr_private_segment_size 0
		.amdhsa_wavefront_size32 1
		.amdhsa_uses_dynamic_stack 0
		.amdhsa_enable_private_segment 0
		.amdhsa_system_sgpr_workgroup_id_x 1
		.amdhsa_system_sgpr_workgroup_id_y 0
		.amdhsa_system_sgpr_workgroup_id_z 0
		.amdhsa_system_sgpr_workgroup_info 0
		.amdhsa_system_vgpr_workitem_id 0
		.amdhsa_next_free_vgpr 150
		.amdhsa_next_free_sgpr 32
		.amdhsa_reserve_vcc 1
		.amdhsa_float_round_mode_32 0
		.amdhsa_float_round_mode_16_64 0
		.amdhsa_float_denorm_mode_32 3
		.amdhsa_float_denorm_mode_16_64 3
		.amdhsa_fp16_overflow 0
		.amdhsa_workgroup_processor_mode 1
		.amdhsa_memory_ordered 1
		.amdhsa_forward_progress 0
		.amdhsa_round_robin_scheduling 0
		.amdhsa_exception_fp_ieee_invalid_op 0
		.amdhsa_exception_fp_denorm_src 0
		.amdhsa_exception_fp_ieee_div_zero 0
		.amdhsa_exception_fp_ieee_overflow 0
		.amdhsa_exception_fp_ieee_underflow 0
		.amdhsa_exception_fp_ieee_inexact 0
		.amdhsa_exception_int_div_zero 0
	.end_amdhsa_kernel
	.text
.Lfunc_end0:
	.size	fft_rtc_fwd_len1078_factors_2_11_7_7_wgs_231_tpt_77_halfLds_sp_ip_CI_unitstride_sbrr_C2R_dirReg, .Lfunc_end0-fft_rtc_fwd_len1078_factors_2_11_7_7_wgs_231_tpt_77_halfLds_sp_ip_CI_unitstride_sbrr_C2R_dirReg
                                        ; -- End function
	.section	.AMDGPU.csdata,"",@progbits
; Kernel info:
; codeLenInByte = 12368
; NumSgprs: 34
; NumVgprs: 150
; ScratchSize: 0
; MemoryBound: 0
; FloatMode: 240
; IeeeMode: 1
; LDSByteSize: 0 bytes/workgroup (compile time only)
; SGPRBlocks: 4
; VGPRBlocks: 18
; NumSGPRsForWavesPerEU: 34
; NumVGPRsForWavesPerEU: 150
; Occupancy: 9
; WaveLimiterHint : 1
; COMPUTE_PGM_RSRC2:SCRATCH_EN: 0
; COMPUTE_PGM_RSRC2:USER_SGPR: 2
; COMPUTE_PGM_RSRC2:TRAP_HANDLER: 0
; COMPUTE_PGM_RSRC2:TGID_X_EN: 1
; COMPUTE_PGM_RSRC2:TGID_Y_EN: 0
; COMPUTE_PGM_RSRC2:TGID_Z_EN: 0
; COMPUTE_PGM_RSRC2:TIDIG_COMP_CNT: 0
	.text
	.p2alignl 7, 3214868480
	.fill 96, 4, 3214868480
	.type	__hip_cuid_bdc439626da6baad,@object ; @__hip_cuid_bdc439626da6baad
	.section	.bss,"aw",@nobits
	.globl	__hip_cuid_bdc439626da6baad
__hip_cuid_bdc439626da6baad:
	.byte	0                               ; 0x0
	.size	__hip_cuid_bdc439626da6baad, 1

	.ident	"AMD clang version 19.0.0git (https://github.com/RadeonOpenCompute/llvm-project roc-6.4.0 25133 c7fe45cf4b819c5991fe208aaa96edf142730f1d)"
	.section	".note.GNU-stack","",@progbits
	.addrsig
	.addrsig_sym __hip_cuid_bdc439626da6baad
	.amdgpu_metadata
---
amdhsa.kernels:
  - .args:
      - .actual_access:  read_only
        .address_space:  global
        .offset:         0
        .size:           8
        .value_kind:     global_buffer
      - .offset:         8
        .size:           8
        .value_kind:     by_value
      - .actual_access:  read_only
        .address_space:  global
        .offset:         16
        .size:           8
        .value_kind:     global_buffer
      - .actual_access:  read_only
        .address_space:  global
        .offset:         24
        .size:           8
        .value_kind:     global_buffer
      - .offset:         32
        .size:           8
        .value_kind:     by_value
      - .actual_access:  read_only
        .address_space:  global
        .offset:         40
        .size:           8
        .value_kind:     global_buffer
      - .actual_access:  read_only
        .address_space:  global
        .offset:         48
        .size:           8
        .value_kind:     global_buffer
      - .offset:         56
        .size:           4
        .value_kind:     by_value
      - .actual_access:  read_only
        .address_space:  global
        .offset:         64
        .size:           8
        .value_kind:     global_buffer
      - .actual_access:  read_only
        .address_space:  global
        .offset:         72
        .size:           8
        .value_kind:     global_buffer
      - .address_space:  global
        .offset:         80
        .size:           8
        .value_kind:     global_buffer
    .group_segment_fixed_size: 0
    .kernarg_segment_align: 8
    .kernarg_segment_size: 88
    .language:       OpenCL C
    .language_version:
      - 2
      - 0
    .max_flat_workgroup_size: 231
    .name:           fft_rtc_fwd_len1078_factors_2_11_7_7_wgs_231_tpt_77_halfLds_sp_ip_CI_unitstride_sbrr_C2R_dirReg
    .private_segment_fixed_size: 0
    .sgpr_count:     34
    .sgpr_spill_count: 0
    .symbol:         fft_rtc_fwd_len1078_factors_2_11_7_7_wgs_231_tpt_77_halfLds_sp_ip_CI_unitstride_sbrr_C2R_dirReg.kd
    .uniform_work_group_size: 1
    .uses_dynamic_stack: false
    .vgpr_count:     150
    .vgpr_spill_count: 0
    .wavefront_size: 32
    .workgroup_processor_mode: 1
amdhsa.target:   amdgcn-amd-amdhsa--gfx1201
amdhsa.version:
  - 1
  - 2
...

	.end_amdgpu_metadata
